;; amdgpu-corpus repo=zolotukhin/zinc kind=compiled arch=gfx1100 opt=O3
	.text
	.amdgcn_target "amdgcn-amd-amdhsa--gfx1100"
	.amdhsa_code_object_version 6
	.protected	rms_norm                ; -- Begin function rms_norm
	.globl	rms_norm
	.p2align	8
	.type	rms_norm,@function
rms_norm:                               ; @rms_norm
; %bb.0:
	s_load_b256 s[4:11], s[0:1], 0x0
	v_mov_b32_e32 v3, 0
	s_waitcnt lgkmcnt(0)
	s_mul_hi_u32 s13, s10, s15
	s_mul_i32 s12, s10, s15
	v_cmp_gt_u32_e64 s2, s10, v0
	s_lshl_b64 s[12:13], s[12:13], 2
	s_delay_alu instid0(SALU_CYCLE_1) | instskip(SKIP_1) | instid1(VALU_DEP_1)
	s_add_u32 s3, s4, s12
	s_addc_u32 s4, s5, s13
	s_and_saveexec_b32 s5, s2
	s_cbranch_execz .LBB0_4
; %bb.1:
	s_load_b32 s14, s[0:1], 0x2c
	v_dual_mov_b32 v2, 0 :: v_dual_mov_b32 v3, 0
	v_mov_b32_e32 v1, v0
	s_waitcnt lgkmcnt(0)
	s_and_b32 s15, s14, 0xffff
	s_mov_b32 s14, 0
.LBB0_2:                                ; =>This Inner Loop Header: Depth=1
	s_delay_alu instid0(VALU_DEP_1) | instskip(SKIP_1) | instid1(VALU_DEP_2)
	v_lshlrev_b64 v[4:5], 2, v[1:2]
	v_add_nc_u32_e32 v1, s15, v1
	v_add_co_u32 v4, vcc_lo, s3, v4
	s_delay_alu instid0(VALU_DEP_3) | instskip(NEXT) | instid1(VALU_DEP_3)
	v_add_co_ci_u32_e32 v5, vcc_lo, s4, v5, vcc_lo
	v_cmp_le_u32_e32 vcc_lo, s10, v1
	global_load_b32 v4, v[4:5], off
	s_or_b32 s14, vcc_lo, s14
	s_waitcnt vmcnt(0)
	v_fmac_f32_e32 v3, v4, v4
	s_and_not1_b32 exec_lo, exec_lo, s14
	s_cbranch_execnz .LBB0_2
; %bb.3:
	s_or_b32 exec_lo, exec_lo, s14
.LBB0_4:
	s_delay_alu instid0(SALU_CYCLE_1) | instskip(SKIP_2) | instid1(VALU_DEP_1)
	s_or_b32 exec_lo, exec_lo, s5
	v_mbcnt_lo_u32_b32 v5, -1, 0
	s_mov_b32 s5, exec_lo
	v_cmp_gt_u32_e32 vcc_lo, 16, v5
	v_cndmask_b32_e64 v1, 0, 1, vcc_lo
	v_cmp_gt_u32_e32 vcc_lo, 24, v5
	s_delay_alu instid0(VALU_DEP_2) | instskip(SKIP_2) | instid1(VALU_DEP_3)
	v_lshlrev_b32_e32 v1, 4, v1
	v_cndmask_b32_e64 v2, 0, 1, vcc_lo
	v_cmp_gt_u32_e32 vcc_lo, 28, v5
	v_add_lshl_u32 v1, v1, v5, 2
	s_delay_alu instid0(VALU_DEP_3)
	v_lshlrev_b32_e32 v2, 3, v2
	ds_bpermute_b32 v4, v1, v3
	v_add_lshl_u32 v2, v2, v5, 2
	s_waitcnt lgkmcnt(0)
	v_add_f32_e32 v4, v3, v4
	v_cndmask_b32_e64 v3, 0, 1, vcc_lo
	v_cmp_gt_u32_e32 vcc_lo, 30, v5
	ds_bpermute_b32 v6, v2, v4
	s_waitcnt lgkmcnt(0)
	v_dual_add_f32 v6, v4, v6 :: v_dual_lshlrev_b32 v3, 2, v3
	s_delay_alu instid0(VALU_DEP_1) | instskip(SKIP_4) | instid1(VALU_DEP_1)
	v_add_lshl_u32 v3, v3, v5, 2
	v_cndmask_b32_e64 v4, 0, 1, vcc_lo
	v_cmp_ne_u32_e32 vcc_lo, 31, v5
	ds_bpermute_b32 v7, v3, v6
	v_lshlrev_b32_e32 v4, 1, v4
	v_add_lshl_u32 v4, v4, v5, 2
	v_add_co_ci_u32_e32 v5, vcc_lo, 0, v5, vcc_lo
	s_waitcnt lgkmcnt(0)
	s_delay_alu instid0(VALU_DEP_1)
	v_dual_add_f32 v6, v6, v7 :: v_dual_lshlrev_b32 v5, 2, v5
	ds_bpermute_b32 v7, v4, v6
	s_waitcnt lgkmcnt(0)
	v_dual_add_f32 v6, v6, v7 :: v_dual_and_b32 v7, 31, v0
	ds_bpermute_b32 v8, v5, v6
	v_cmpx_eq_u32_e32 0, v7
	s_cbranch_execz .LBB0_6
; %bb.5:
	s_waitcnt lgkmcnt(0)
	v_add_f32_e32 v6, v6, v8
	v_lshrrev_b32_e32 v8, 3, v0
	ds_store_b32 v8, v6
.LBB0_6:
	s_or_b32 exec_lo, exec_lo, s5
	s_waitcnt lgkmcnt(0)
	s_barrier
	buffer_gl0_inv
	s_load_b32 s0, s[0:1], 0x2c
	v_mov_b32_e32 v6, 0
	s_waitcnt lgkmcnt(0)
	s_and_b32 s1, s0, 0xffff
	s_delay_alu instid0(SALU_CYCLE_1) | instskip(NEXT) | instid1(SALU_CYCLE_1)
	s_add_i32 s0, s1, 31
	s_lshr_b32 s0, s0, 5
	s_delay_alu instid0(SALU_CYCLE_1)
	v_cmp_gt_u32_e32 vcc_lo, s0, v0
	s_and_saveexec_b32 s0, vcc_lo
	s_cbranch_execz .LBB0_8
; %bb.7:
	v_lshlrev_b32_e32 v6, 2, v7
	ds_load_b32 v6, v6
.LBB0_8:
	s_or_b32 exec_lo, exec_lo, s0
	s_delay_alu instid0(SALU_CYCLE_1)
	s_mov_b32 s0, exec_lo
	v_cmpx_gt_u32_e32 32, v0
	s_cbranch_execz .LBB0_10
; %bb.9:
	s_waitcnt lgkmcnt(0)
	ds_bpermute_b32 v1, v1, v6
	s_waitcnt lgkmcnt(0)
	v_add_f32_e32 v1, v6, v1
	ds_bpermute_b32 v2, v2, v1
	s_waitcnt lgkmcnt(0)
	v_add_f32_e32 v1, v1, v2
	;; [unrolled: 3-line block ×5, first 2 shown]
.LBB0_10:
	s_or_b32 exec_lo, exec_lo, s0
	s_delay_alu instid0(SALU_CYCLE_1)
	s_mov_b32 s0, exec_lo
	v_cmpx_eq_u32_e32 0, v0
	s_cbranch_execz .LBB0_12
; %bb.11:
	v_cvt_f32_u32_e32 v1, s10
	s_waitcnt lgkmcnt(0)
	s_delay_alu instid0(VALU_DEP_1) | instskip(SKIP_1) | instid1(VALU_DEP_2)
	v_div_scale_f32 v2, null, v1, v1, v6
	v_div_scale_f32 v5, vcc_lo, v6, v1, v6
	v_rcp_f32_e32 v3, v2
	s_waitcnt_depctr 0xfff
	v_fma_f32 v4, -v2, v3, 1.0
	s_delay_alu instid0(VALU_DEP_1) | instskip(NEXT) | instid1(VALU_DEP_1)
	v_fmac_f32_e32 v3, v4, v3
	v_mul_f32_e32 v4, v5, v3
	s_delay_alu instid0(VALU_DEP_1) | instskip(NEXT) | instid1(VALU_DEP_1)
	v_fma_f32 v7, -v2, v4, v5
	v_fmac_f32_e32 v4, v7, v3
	s_delay_alu instid0(VALU_DEP_1) | instskip(NEXT) | instid1(VALU_DEP_1)
	v_fma_f32 v2, -v2, v4, v5
	v_div_fmas_f32 v2, v2, v3, v4
	s_delay_alu instid0(VALU_DEP_1) | instskip(NEXT) | instid1(VALU_DEP_1)
	v_div_fixup_f32 v1, v2, v1, v6
	v_add_f32_e32 v1, s11, v1
	s_delay_alu instid0(VALU_DEP_1) | instskip(SKIP_1) | instid1(VALU_DEP_2)
	v_mul_f32_e32 v2, 0x4b800000, v1
	v_cmp_gt_f32_e32 vcc_lo, 0x800000, v1
	v_cndmask_b32_e32 v1, v1, v2, vcc_lo
	s_delay_alu instid0(VALU_DEP_1) | instskip(SKIP_2) | instid1(VALU_DEP_1)
	v_rsq_f32_e32 v1, v1
	s_waitcnt_depctr 0xfff
	v_mul_f32_e32 v2, 0x45800000, v1
	v_dual_cndmask_b32 v1, v1, v2 :: v_dual_mov_b32 v2, 0
	ds_store_b32 v2, v1 offset:128
.LBB0_12:
	s_or_b32 exec_lo, exec_lo, s0
	s_waitcnt lgkmcnt(0)
	s_barrier
	buffer_gl0_inv
	s_and_saveexec_b32 s0, s2
	s_cbranch_execz .LBB0_15
; %bb.13:
	v_mov_b32_e32 v1, 0
	s_add_u32 s2, s8, s12
	s_addc_u32 s5, s9, s13
	s_mov_b32 s8, 0
	ds_load_b32 v2, v1 offset:128
	.p2align	6
.LBB0_14:                               ; =>This Inner Loop Header: Depth=1
	v_lshlrev_b64 v[3:4], 2, v[0:1]
	s_delay_alu instid0(VALU_DEP_1) | instskip(NEXT) | instid1(VALU_DEP_2)
	v_add_co_u32 v5, vcc_lo, s3, v3
	v_add_co_ci_u32_e32 v6, vcc_lo, s4, v4, vcc_lo
	v_add_co_u32 v7, vcc_lo, s6, v3
	v_add_co_ci_u32_e32 v8, vcc_lo, s7, v4, vcc_lo
	v_add_co_u32 v3, s0, s2, v3
	global_load_b32 v5, v[5:6], off
	global_load_b32 v6, v[7:8], off
	v_add_nc_u32_e32 v0, s1, v0
	v_add_co_ci_u32_e64 v4, s0, s5, v4, s0
	s_waitcnt vmcnt(1) lgkmcnt(0)
	v_mul_f32_e32 v5, v2, v5
	s_delay_alu instid0(VALU_DEP_3) | instskip(SKIP_1) | instid1(VALU_DEP_2)
	v_cmp_le_u32_e32 vcc_lo, s10, v0
	s_waitcnt vmcnt(0)
	v_mul_f32_e32 v5, v6, v5
	s_or_b32 s8, vcc_lo, s8
	global_store_b32 v[3:4], v5, off
	s_and_not1_b32 exec_lo, exec_lo, s8
	s_cbranch_execnz .LBB0_14
.LBB0_15:
	s_nop 0
	s_sendmsg sendmsg(MSG_DEALLOC_VGPRS)
	s_endpgm
	.section	.rodata,"a",@progbits
	.p2align	6, 0x0
	.amdhsa_kernel rms_norm
		.amdhsa_group_segment_fixed_size 132
		.amdhsa_private_segment_fixed_size 0
		.amdhsa_kernarg_size 288
		.amdhsa_user_sgpr_count 15
		.amdhsa_user_sgpr_dispatch_ptr 0
		.amdhsa_user_sgpr_queue_ptr 0
		.amdhsa_user_sgpr_kernarg_segment_ptr 1
		.amdhsa_user_sgpr_dispatch_id 0
		.amdhsa_user_sgpr_private_segment_size 0
		.amdhsa_wavefront_size32 1
		.amdhsa_uses_dynamic_stack 0
		.amdhsa_enable_private_segment 0
		.amdhsa_system_sgpr_workgroup_id_x 1
		.amdhsa_system_sgpr_workgroup_id_y 0
		.amdhsa_system_sgpr_workgroup_id_z 0
		.amdhsa_system_sgpr_workgroup_info 0
		.amdhsa_system_vgpr_workitem_id 0
		.amdhsa_next_free_vgpr 9
		.amdhsa_next_free_sgpr 16
		.amdhsa_reserve_vcc 1
		.amdhsa_float_round_mode_32 0
		.amdhsa_float_round_mode_16_64 0
		.amdhsa_float_denorm_mode_32 3
		.amdhsa_float_denorm_mode_16_64 3
		.amdhsa_dx10_clamp 1
		.amdhsa_ieee_mode 1
		.amdhsa_fp16_overflow 0
		.amdhsa_workgroup_processor_mode 1
		.amdhsa_memory_ordered 1
		.amdhsa_forward_progress 0
		.amdhsa_shared_vgpr_count 0
		.amdhsa_exception_fp_ieee_invalid_op 0
		.amdhsa_exception_fp_denorm_src 0
		.amdhsa_exception_fp_ieee_div_zero 0
		.amdhsa_exception_fp_ieee_overflow 0
		.amdhsa_exception_fp_ieee_underflow 0
		.amdhsa_exception_fp_ieee_inexact 0
		.amdhsa_exception_int_div_zero 0
	.end_amdhsa_kernel
	.text
.Lfunc_end0:
	.size	rms_norm, .Lfunc_end0-rms_norm
                                        ; -- End function
	.section	.AMDGPU.csdata,"",@progbits
; Kernel info:
; codeLenInByte = 964
; NumSgprs: 18
; NumVgprs: 9
; ScratchSize: 0
; MemoryBound: 0
; FloatMode: 240
; IeeeMode: 1
; LDSByteSize: 132 bytes/workgroup (compile time only)
; SGPRBlocks: 2
; VGPRBlocks: 1
; NumSGPRsForWavesPerEU: 18
; NumVGPRsForWavesPerEU: 9
; Occupancy: 16
; WaveLimiterHint : 0
; COMPUTE_PGM_RSRC2:SCRATCH_EN: 0
; COMPUTE_PGM_RSRC2:USER_SGPR: 15
; COMPUTE_PGM_RSRC2:TRAP_HANDLER: 0
; COMPUTE_PGM_RSRC2:TGID_X_EN: 1
; COMPUTE_PGM_RSRC2:TGID_Y_EN: 0
; COMPUTE_PGM_RSRC2:TGID_Z_EN: 0
; COMPUTE_PGM_RSRC2:TIDIG_COMP_CNT: 0
	.text
	.protected	rms_norm_residual       ; -- Begin function rms_norm_residual
	.globl	rms_norm_residual
	.p2align	8
	.type	rms_norm_residual,@function
rms_norm_residual:                      ; @rms_norm_residual
; %bb.0:
	s_load_b256 s[4:11], s[0:1], 0x0
	v_mov_b32_e32 v3, 0
	s_waitcnt lgkmcnt(0)
	s_mul_hi_u32 s13, s10, s15
	s_mul_i32 s12, s10, s15
	v_cmp_gt_u32_e64 s2, s10, v0
	s_lshl_b64 s[12:13], s[12:13], 2
	s_delay_alu instid0(SALU_CYCLE_1) | instskip(SKIP_1) | instid1(VALU_DEP_1)
	s_add_u32 s3, s4, s12
	s_addc_u32 s4, s5, s13
	s_and_saveexec_b32 s5, s2
	s_cbranch_execz .LBB1_4
; %bb.1:
	s_load_b32 s14, s[0:1], 0x2c
	v_dual_mov_b32 v2, 0 :: v_dual_mov_b32 v3, 0
	v_mov_b32_e32 v1, v0
	s_waitcnt lgkmcnt(0)
	s_and_b32 s15, s14, 0xffff
	s_mov_b32 s14, 0
.LBB1_2:                                ; =>This Inner Loop Header: Depth=1
	s_delay_alu instid0(VALU_DEP_1) | instskip(SKIP_1) | instid1(VALU_DEP_2)
	v_lshlrev_b64 v[4:5], 2, v[1:2]
	v_add_nc_u32_e32 v1, s15, v1
	v_add_co_u32 v4, vcc_lo, s3, v4
	s_delay_alu instid0(VALU_DEP_3) | instskip(NEXT) | instid1(VALU_DEP_3)
	v_add_co_ci_u32_e32 v5, vcc_lo, s4, v5, vcc_lo
	v_cmp_le_u32_e32 vcc_lo, s10, v1
	global_load_b32 v4, v[4:5], off
	s_or_b32 s14, vcc_lo, s14
	s_waitcnt vmcnt(0)
	v_fmac_f32_e32 v3, v4, v4
	s_and_not1_b32 exec_lo, exec_lo, s14
	s_cbranch_execnz .LBB1_2
; %bb.3:
	s_or_b32 exec_lo, exec_lo, s14
.LBB1_4:
	s_delay_alu instid0(SALU_CYCLE_1) | instskip(SKIP_2) | instid1(VALU_DEP_1)
	s_or_b32 exec_lo, exec_lo, s5
	v_mbcnt_lo_u32_b32 v5, -1, 0
	s_mov_b32 s5, exec_lo
	v_cmp_gt_u32_e32 vcc_lo, 16, v5
	v_cndmask_b32_e64 v1, 0, 1, vcc_lo
	v_cmp_gt_u32_e32 vcc_lo, 24, v5
	s_delay_alu instid0(VALU_DEP_2) | instskip(SKIP_2) | instid1(VALU_DEP_3)
	v_lshlrev_b32_e32 v1, 4, v1
	v_cndmask_b32_e64 v2, 0, 1, vcc_lo
	v_cmp_gt_u32_e32 vcc_lo, 28, v5
	v_add_lshl_u32 v1, v1, v5, 2
	s_delay_alu instid0(VALU_DEP_3)
	v_lshlrev_b32_e32 v2, 3, v2
	ds_bpermute_b32 v4, v1, v3
	v_add_lshl_u32 v2, v2, v5, 2
	s_waitcnt lgkmcnt(0)
	v_add_f32_e32 v4, v3, v4
	v_cndmask_b32_e64 v3, 0, 1, vcc_lo
	v_cmp_gt_u32_e32 vcc_lo, 30, v5
	ds_bpermute_b32 v6, v2, v4
	s_waitcnt lgkmcnt(0)
	v_dual_add_f32 v6, v4, v6 :: v_dual_lshlrev_b32 v3, 2, v3
	s_delay_alu instid0(VALU_DEP_1) | instskip(SKIP_4) | instid1(VALU_DEP_1)
	v_add_lshl_u32 v3, v3, v5, 2
	v_cndmask_b32_e64 v4, 0, 1, vcc_lo
	v_cmp_ne_u32_e32 vcc_lo, 31, v5
	ds_bpermute_b32 v7, v3, v6
	v_lshlrev_b32_e32 v4, 1, v4
	v_add_lshl_u32 v4, v4, v5, 2
	v_add_co_ci_u32_e32 v5, vcc_lo, 0, v5, vcc_lo
	s_waitcnt lgkmcnt(0)
	s_delay_alu instid0(VALU_DEP_1)
	v_dual_add_f32 v6, v6, v7 :: v_dual_lshlrev_b32 v5, 2, v5
	ds_bpermute_b32 v7, v4, v6
	s_waitcnt lgkmcnt(0)
	v_dual_add_f32 v6, v6, v7 :: v_dual_and_b32 v7, 31, v0
	ds_bpermute_b32 v8, v5, v6
	v_cmpx_eq_u32_e32 0, v7
	s_cbranch_execz .LBB1_6
; %bb.5:
	s_waitcnt lgkmcnt(0)
	v_add_f32_e32 v6, v6, v8
	v_lshrrev_b32_e32 v8, 3, v0
	ds_store_b32 v8, v6
.LBB1_6:
	s_or_b32 exec_lo, exec_lo, s5
	s_waitcnt lgkmcnt(0)
	s_barrier
	buffer_gl0_inv
	s_load_b32 s0, s[0:1], 0x2c
	v_mov_b32_e32 v6, 0
	s_waitcnt lgkmcnt(0)
	s_and_b32 s0, s0, 0xffff
	s_delay_alu instid0(SALU_CYCLE_1) | instskip(NEXT) | instid1(SALU_CYCLE_1)
	s_add_i32 s1, s0, 31
	s_lshr_b32 s1, s1, 5
	s_delay_alu instid0(SALU_CYCLE_1)
	v_cmp_gt_u32_e32 vcc_lo, s1, v0
	s_and_saveexec_b32 s1, vcc_lo
	s_cbranch_execz .LBB1_8
; %bb.7:
	v_lshlrev_b32_e32 v6, 2, v7
	ds_load_b32 v6, v6
.LBB1_8:
	s_or_b32 exec_lo, exec_lo, s1
	s_delay_alu instid0(SALU_CYCLE_1)
	s_mov_b32 s1, exec_lo
	v_cmpx_gt_u32_e32 32, v0
	s_cbranch_execz .LBB1_10
; %bb.9:
	s_waitcnt lgkmcnt(0)
	ds_bpermute_b32 v1, v1, v6
	s_waitcnt lgkmcnt(0)
	v_add_f32_e32 v1, v6, v1
	ds_bpermute_b32 v2, v2, v1
	s_waitcnt lgkmcnt(0)
	v_add_f32_e32 v1, v1, v2
	;; [unrolled: 3-line block ×5, first 2 shown]
.LBB1_10:
	s_or_b32 exec_lo, exec_lo, s1
	s_delay_alu instid0(SALU_CYCLE_1)
	s_mov_b32 s1, exec_lo
	v_cmpx_eq_u32_e32 0, v0
	s_cbranch_execz .LBB1_12
; %bb.11:
	v_cvt_f32_u32_e32 v1, s10
	s_waitcnt lgkmcnt(0)
	s_delay_alu instid0(VALU_DEP_1) | instskip(SKIP_1) | instid1(VALU_DEP_2)
	v_div_scale_f32 v2, null, v1, v1, v6
	v_div_scale_f32 v5, vcc_lo, v6, v1, v6
	v_rcp_f32_e32 v3, v2
	s_waitcnt_depctr 0xfff
	v_fma_f32 v4, -v2, v3, 1.0
	s_delay_alu instid0(VALU_DEP_1) | instskip(NEXT) | instid1(VALU_DEP_1)
	v_fmac_f32_e32 v3, v4, v3
	v_mul_f32_e32 v4, v5, v3
	s_delay_alu instid0(VALU_DEP_1) | instskip(NEXT) | instid1(VALU_DEP_1)
	v_fma_f32 v7, -v2, v4, v5
	v_fmac_f32_e32 v4, v7, v3
	s_delay_alu instid0(VALU_DEP_1) | instskip(NEXT) | instid1(VALU_DEP_1)
	v_fma_f32 v2, -v2, v4, v5
	v_div_fmas_f32 v2, v2, v3, v4
	s_delay_alu instid0(VALU_DEP_1) | instskip(NEXT) | instid1(VALU_DEP_1)
	v_div_fixup_f32 v1, v2, v1, v6
	v_add_f32_e32 v1, s11, v1
	s_delay_alu instid0(VALU_DEP_1) | instskip(SKIP_1) | instid1(VALU_DEP_2)
	v_mul_f32_e32 v2, 0x4b800000, v1
	v_cmp_gt_f32_e32 vcc_lo, 0x800000, v1
	v_cndmask_b32_e32 v1, v1, v2, vcc_lo
	s_delay_alu instid0(VALU_DEP_1) | instskip(SKIP_2) | instid1(VALU_DEP_1)
	v_rsq_f32_e32 v1, v1
	s_waitcnt_depctr 0xfff
	v_mul_f32_e32 v2, 0x45800000, v1
	v_dual_cndmask_b32 v1, v1, v2 :: v_dual_mov_b32 v2, 0
	ds_store_b32 v2, v1 offset:128
.LBB1_12:
	s_or_b32 exec_lo, exec_lo, s1
	s_waitcnt lgkmcnt(0)
	s_barrier
	buffer_gl0_inv
	s_and_saveexec_b32 s1, s2
	s_cbranch_execz .LBB1_15
; %bb.13:
	v_mov_b32_e32 v1, 0
	s_add_u32 s1, s8, s12
	s_addc_u32 s2, s9, s13
	s_mov_b32 s5, 0
	ds_load_b32 v2, v1 offset:128
	.p2align	6
.LBB1_14:                               ; =>This Inner Loop Header: Depth=1
	v_lshlrev_b64 v[3:4], 2, v[0:1]
	s_delay_alu instid0(VALU_DEP_1) | instskip(NEXT) | instid1(VALU_DEP_2)
	v_add_co_u32 v5, vcc_lo, s6, v3
	v_add_co_ci_u32_e32 v6, vcc_lo, s7, v4, vcc_lo
	v_add_co_u32 v7, vcc_lo, s3, v3
	v_add_co_ci_u32_e32 v8, vcc_lo, s4, v4, vcc_lo
	;; [unrolled: 2-line block ×3, first 2 shown]
	global_load_b32 v7, v[7:8], off
	global_load_b32 v5, v[5:6], off
	;; [unrolled: 1-line block ×3, first 2 shown]
	s_waitcnt vmcnt(2) lgkmcnt(0)
	v_dual_mul_f32 v7, v2, v7 :: v_dual_add_nc_u32 v0, s0, v0
	s_delay_alu instid0(VALU_DEP_1) | instskip(SKIP_1) | instid1(VALU_DEP_2)
	v_cmp_le_u32_e32 vcc_lo, s10, v0
	s_waitcnt vmcnt(0)
	v_fmac_f32_e32 v6, v5, v7
	s_or_b32 s5, vcc_lo, s5
	global_store_b32 v[3:4], v6, off
	s_and_not1_b32 exec_lo, exec_lo, s5
	s_cbranch_execnz .LBB1_14
.LBB1_15:
	s_nop 0
	s_sendmsg sendmsg(MSG_DEALLOC_VGPRS)
	s_endpgm
	.section	.rodata,"a",@progbits
	.p2align	6, 0x0
	.amdhsa_kernel rms_norm_residual
		.amdhsa_group_segment_fixed_size 132
		.amdhsa_private_segment_fixed_size 0
		.amdhsa_kernarg_size 288
		.amdhsa_user_sgpr_count 15
		.amdhsa_user_sgpr_dispatch_ptr 0
		.amdhsa_user_sgpr_queue_ptr 0
		.amdhsa_user_sgpr_kernarg_segment_ptr 1
		.amdhsa_user_sgpr_dispatch_id 0
		.amdhsa_user_sgpr_private_segment_size 0
		.amdhsa_wavefront_size32 1
		.amdhsa_uses_dynamic_stack 0
		.amdhsa_enable_private_segment 0
		.amdhsa_system_sgpr_workgroup_id_x 1
		.amdhsa_system_sgpr_workgroup_id_y 0
		.amdhsa_system_sgpr_workgroup_id_z 0
		.amdhsa_system_sgpr_workgroup_info 0
		.amdhsa_system_vgpr_workitem_id 0
		.amdhsa_next_free_vgpr 9
		.amdhsa_next_free_sgpr 16
		.amdhsa_reserve_vcc 1
		.amdhsa_float_round_mode_32 0
		.amdhsa_float_round_mode_16_64 0
		.amdhsa_float_denorm_mode_32 3
		.amdhsa_float_denorm_mode_16_64 3
		.amdhsa_dx10_clamp 1
		.amdhsa_ieee_mode 1
		.amdhsa_fp16_overflow 0
		.amdhsa_workgroup_processor_mode 1
		.amdhsa_memory_ordered 1
		.amdhsa_forward_progress 0
		.amdhsa_shared_vgpr_count 0
		.amdhsa_exception_fp_ieee_invalid_op 0
		.amdhsa_exception_fp_denorm_src 0
		.amdhsa_exception_fp_ieee_div_zero 0
		.amdhsa_exception_fp_ieee_overflow 0
		.amdhsa_exception_fp_ieee_underflow 0
		.amdhsa_exception_fp_ieee_inexact 0
		.amdhsa_exception_int_div_zero 0
	.end_amdhsa_kernel
	.text
.Lfunc_end1:
	.size	rms_norm_residual, .Lfunc_end1-rms_norm_residual
                                        ; -- End function
	.section	.AMDGPU.csdata,"",@progbits
; Kernel info:
; codeLenInByte = 968
; NumSgprs: 18
; NumVgprs: 9
; ScratchSize: 0
; MemoryBound: 0
; FloatMode: 240
; IeeeMode: 1
; LDSByteSize: 132 bytes/workgroup (compile time only)
; SGPRBlocks: 2
; VGPRBlocks: 1
; NumSGPRsForWavesPerEU: 18
; NumVGPRsForWavesPerEU: 9
; Occupancy: 16
; WaveLimiterHint : 0
; COMPUTE_PGM_RSRC2:SCRATCH_EN: 0
; COMPUTE_PGM_RSRC2:USER_SGPR: 15
; COMPUTE_PGM_RSRC2:TRAP_HANDLER: 0
; COMPUTE_PGM_RSRC2:TGID_X_EN: 1
; COMPUTE_PGM_RSRC2:TGID_Y_EN: 0
; COMPUTE_PGM_RSRC2:TGID_Z_EN: 0
; COMPUTE_PGM_RSRC2:TIDIG_COMP_CNT: 0
	.text
	.protected	rms_norm_residual_scale ; -- Begin function rms_norm_residual_scale
	.globl	rms_norm_residual_scale
	.p2align	8
	.type	rms_norm_residual_scale,@function
rms_norm_residual_scale:                ; @rms_norm_residual_scale
; %bb.0:
	s_clause 0x1
	s_load_b64 s[12:13], s[0:1], 0x20
	s_load_b256 s[4:11], s[0:1], 0x0
	v_mov_b32_e32 v3, 0
	s_waitcnt lgkmcnt(0)
	s_mul_hi_u32 s17, s12, s15
	s_mul_i32 s16, s12, s15
	v_cmp_gt_u32_e64 s2, s12, v0
	s_lshl_b64 s[14:15], s[16:17], 2
	s_delay_alu instid0(SALU_CYCLE_1) | instskip(SKIP_1) | instid1(VALU_DEP_1)
	s_add_u32 s3, s4, s14
	s_addc_u32 s4, s5, s15
	s_and_saveexec_b32 s5, s2
	s_cbranch_execz .LBB2_4
; %bb.1:
	s_load_b32 s16, s[0:1], 0x34
	v_dual_mov_b32 v2, 0 :: v_dual_mov_b32 v3, 0
	v_mov_b32_e32 v1, v0
	s_waitcnt lgkmcnt(0)
	s_and_b32 s17, s16, 0xffff
	s_mov_b32 s16, 0
.LBB2_2:                                ; =>This Inner Loop Header: Depth=1
	s_delay_alu instid0(VALU_DEP_1) | instskip(SKIP_1) | instid1(VALU_DEP_2)
	v_lshlrev_b64 v[4:5], 2, v[1:2]
	v_add_nc_u32_e32 v1, s17, v1
	v_add_co_u32 v4, vcc_lo, s3, v4
	s_delay_alu instid0(VALU_DEP_3) | instskip(NEXT) | instid1(VALU_DEP_3)
	v_add_co_ci_u32_e32 v5, vcc_lo, s4, v5, vcc_lo
	v_cmp_le_u32_e32 vcc_lo, s12, v1
	global_load_b32 v4, v[4:5], off
	s_or_b32 s16, vcc_lo, s16
	s_waitcnt vmcnt(0)
	v_fmac_f32_e32 v3, v4, v4
	s_and_not1_b32 exec_lo, exec_lo, s16
	s_cbranch_execnz .LBB2_2
; %bb.3:
	s_or_b32 exec_lo, exec_lo, s16
.LBB2_4:
	s_delay_alu instid0(SALU_CYCLE_1) | instskip(SKIP_2) | instid1(VALU_DEP_1)
	s_or_b32 exec_lo, exec_lo, s5
	v_mbcnt_lo_u32_b32 v5, -1, 0
	s_mov_b32 s5, exec_lo
	v_cmp_gt_u32_e32 vcc_lo, 16, v5
	v_cndmask_b32_e64 v1, 0, 1, vcc_lo
	v_cmp_gt_u32_e32 vcc_lo, 24, v5
	s_delay_alu instid0(VALU_DEP_2) | instskip(SKIP_2) | instid1(VALU_DEP_3)
	v_lshlrev_b32_e32 v1, 4, v1
	v_cndmask_b32_e64 v2, 0, 1, vcc_lo
	v_cmp_gt_u32_e32 vcc_lo, 28, v5
	v_add_lshl_u32 v1, v1, v5, 2
	s_delay_alu instid0(VALU_DEP_3)
	v_lshlrev_b32_e32 v2, 3, v2
	ds_bpermute_b32 v4, v1, v3
	v_add_lshl_u32 v2, v2, v5, 2
	s_waitcnt lgkmcnt(0)
	v_add_f32_e32 v4, v3, v4
	v_cndmask_b32_e64 v3, 0, 1, vcc_lo
	v_cmp_gt_u32_e32 vcc_lo, 30, v5
	ds_bpermute_b32 v6, v2, v4
	s_waitcnt lgkmcnt(0)
	v_dual_add_f32 v6, v4, v6 :: v_dual_lshlrev_b32 v3, 2, v3
	s_delay_alu instid0(VALU_DEP_1) | instskip(SKIP_4) | instid1(VALU_DEP_1)
	v_add_lshl_u32 v3, v3, v5, 2
	v_cndmask_b32_e64 v4, 0, 1, vcc_lo
	v_cmp_ne_u32_e32 vcc_lo, 31, v5
	ds_bpermute_b32 v7, v3, v6
	v_lshlrev_b32_e32 v4, 1, v4
	v_add_lshl_u32 v4, v4, v5, 2
	v_add_co_ci_u32_e32 v5, vcc_lo, 0, v5, vcc_lo
	s_waitcnt lgkmcnt(0)
	s_delay_alu instid0(VALU_DEP_1)
	v_dual_add_f32 v6, v6, v7 :: v_dual_lshlrev_b32 v5, 2, v5
	ds_bpermute_b32 v7, v4, v6
	s_waitcnt lgkmcnt(0)
	v_dual_add_f32 v6, v6, v7 :: v_dual_and_b32 v7, 31, v0
	ds_bpermute_b32 v8, v5, v6
	v_cmpx_eq_u32_e32 0, v7
	s_cbranch_execz .LBB2_6
; %bb.5:
	s_waitcnt lgkmcnt(0)
	v_add_f32_e32 v6, v6, v8
	v_lshrrev_b32_e32 v8, 3, v0
	ds_store_b32 v8, v6
.LBB2_6:
	s_or_b32 exec_lo, exec_lo, s5
	s_waitcnt lgkmcnt(0)
	s_barrier
	buffer_gl0_inv
	s_load_b32 s0, s[0:1], 0x34
	v_mov_b32_e32 v6, 0
	s_waitcnt lgkmcnt(0)
	s_and_b32 s0, s0, 0xffff
	s_delay_alu instid0(SALU_CYCLE_1) | instskip(NEXT) | instid1(SALU_CYCLE_1)
	s_add_i32 s1, s0, 31
	s_lshr_b32 s1, s1, 5
	s_delay_alu instid0(SALU_CYCLE_1)
	v_cmp_gt_u32_e32 vcc_lo, s1, v0
	s_and_saveexec_b32 s1, vcc_lo
	s_cbranch_execz .LBB2_8
; %bb.7:
	v_lshlrev_b32_e32 v6, 2, v7
	ds_load_b32 v6, v6
.LBB2_8:
	s_or_b32 exec_lo, exec_lo, s1
	s_delay_alu instid0(SALU_CYCLE_1)
	s_mov_b32 s1, exec_lo
	v_cmpx_gt_u32_e32 32, v0
	s_cbranch_execz .LBB2_10
; %bb.9:
	s_waitcnt lgkmcnt(0)
	ds_bpermute_b32 v1, v1, v6
	s_waitcnt lgkmcnt(0)
	v_add_f32_e32 v1, v6, v1
	ds_bpermute_b32 v2, v2, v1
	s_waitcnt lgkmcnt(0)
	v_add_f32_e32 v1, v1, v2
	;; [unrolled: 3-line block ×5, first 2 shown]
.LBB2_10:
	s_or_b32 exec_lo, exec_lo, s1
	s_delay_alu instid0(SALU_CYCLE_1)
	s_mov_b32 s1, exec_lo
	v_cmpx_eq_u32_e32 0, v0
	s_cbranch_execz .LBB2_12
; %bb.11:
	v_cvt_f32_u32_e32 v1, s12
	s_waitcnt lgkmcnt(0)
	s_delay_alu instid0(VALU_DEP_1) | instskip(SKIP_1) | instid1(VALU_DEP_2)
	v_div_scale_f32 v2, null, v1, v1, v6
	v_div_scale_f32 v5, vcc_lo, v6, v1, v6
	v_rcp_f32_e32 v3, v2
	s_waitcnt_depctr 0xfff
	v_fma_f32 v4, -v2, v3, 1.0
	s_delay_alu instid0(VALU_DEP_1) | instskip(NEXT) | instid1(VALU_DEP_1)
	v_fmac_f32_e32 v3, v4, v3
	v_mul_f32_e32 v4, v5, v3
	s_delay_alu instid0(VALU_DEP_1) | instskip(NEXT) | instid1(VALU_DEP_1)
	v_fma_f32 v7, -v2, v4, v5
	v_fmac_f32_e32 v4, v7, v3
	s_delay_alu instid0(VALU_DEP_1) | instskip(NEXT) | instid1(VALU_DEP_1)
	v_fma_f32 v2, -v2, v4, v5
	v_div_fmas_f32 v2, v2, v3, v4
	s_delay_alu instid0(VALU_DEP_1) | instskip(NEXT) | instid1(VALU_DEP_1)
	v_div_fixup_f32 v1, v2, v1, v6
	v_add_f32_e32 v1, s13, v1
	s_delay_alu instid0(VALU_DEP_1) | instskip(SKIP_1) | instid1(VALU_DEP_2)
	v_mul_f32_e32 v2, 0x4b800000, v1
	v_cmp_gt_f32_e32 vcc_lo, 0x800000, v1
	v_cndmask_b32_e32 v1, v1, v2, vcc_lo
	s_delay_alu instid0(VALU_DEP_1) | instskip(SKIP_2) | instid1(VALU_DEP_1)
	v_rsq_f32_e32 v1, v1
	s_waitcnt_depctr 0xfff
	v_mul_f32_e32 v2, 0x45800000, v1
	v_dual_cndmask_b32 v1, v1, v2 :: v_dual_mov_b32 v2, 0
	ds_store_b32 v2, v1 offset:128
.LBB2_12:
	s_or_b32 exec_lo, exec_lo, s1
	s_waitcnt lgkmcnt(0)
	s_barrier
	buffer_gl0_inv
	s_and_saveexec_b32 s1, s2
	s_cbranch_execz .LBB2_15
; %bb.13:
	v_mov_b32_e32 v1, 0
	s_load_b32 s1, s[10:11], 0x0
	s_add_u32 s2, s8, s14
	s_addc_u32 s5, s9, s15
	s_mov_b32 s8, 0
	ds_load_b32 v2, v1 offset:128
	.p2align	6
.LBB2_14:                               ; =>This Inner Loop Header: Depth=1
	v_lshlrev_b64 v[3:4], 2, v[0:1]
	v_add_nc_u32_e32 v0, s0, v0
	s_delay_alu instid0(VALU_DEP_2) | instskip(NEXT) | instid1(VALU_DEP_3)
	v_add_co_u32 v5, vcc_lo, s2, v3
	v_add_co_ci_u32_e32 v6, vcc_lo, s5, v4, vcc_lo
	v_add_co_u32 v7, vcc_lo, s3, v3
	v_add_co_ci_u32_e32 v8, vcc_lo, s4, v4, vcc_lo
	;; [unrolled: 2-line block ×3, first 2 shown]
	global_load_b32 v7, v[7:8], off
	global_load_b32 v8, v[5:6], off
	;; [unrolled: 1-line block ×3, first 2 shown]
	v_cmp_le_u32_e32 vcc_lo, s12, v0
	s_or_b32 s8, vcc_lo, s8
	s_waitcnt vmcnt(2) lgkmcnt(0)
	v_mul_f32_e32 v4, v2, v7
	s_waitcnt vmcnt(0)
	s_delay_alu instid0(VALU_DEP_1) | instskip(NEXT) | instid1(VALU_DEP_1)
	v_fmac_f32_e32 v8, v3, v4
	v_mul_f32_e32 v3, s1, v8
	global_store_b32 v[5:6], v3, off
	s_and_not1_b32 exec_lo, exec_lo, s8
	s_cbranch_execnz .LBB2_14
.LBB2_15:
	s_nop 0
	s_sendmsg sendmsg(MSG_DEALLOC_VGPRS)
	s_endpgm
	.section	.rodata,"a",@progbits
	.p2align	6, 0x0
	.amdhsa_kernel rms_norm_residual_scale
		.amdhsa_group_segment_fixed_size 132
		.amdhsa_private_segment_fixed_size 0
		.amdhsa_kernarg_size 296
		.amdhsa_user_sgpr_count 15
		.amdhsa_user_sgpr_dispatch_ptr 0
		.amdhsa_user_sgpr_queue_ptr 0
		.amdhsa_user_sgpr_kernarg_segment_ptr 1
		.amdhsa_user_sgpr_dispatch_id 0
		.amdhsa_user_sgpr_private_segment_size 0
		.amdhsa_wavefront_size32 1
		.amdhsa_uses_dynamic_stack 0
		.amdhsa_enable_private_segment 0
		.amdhsa_system_sgpr_workgroup_id_x 1
		.amdhsa_system_sgpr_workgroup_id_y 0
		.amdhsa_system_sgpr_workgroup_id_z 0
		.amdhsa_system_sgpr_workgroup_info 0
		.amdhsa_system_vgpr_workitem_id 0
		.amdhsa_next_free_vgpr 9
		.amdhsa_next_free_sgpr 18
		.amdhsa_reserve_vcc 1
		.amdhsa_float_round_mode_32 0
		.amdhsa_float_round_mode_16_64 0
		.amdhsa_float_denorm_mode_32 3
		.amdhsa_float_denorm_mode_16_64 3
		.amdhsa_dx10_clamp 1
		.amdhsa_ieee_mode 1
		.amdhsa_fp16_overflow 0
		.amdhsa_workgroup_processor_mode 1
		.amdhsa_memory_ordered 1
		.amdhsa_forward_progress 0
		.amdhsa_shared_vgpr_count 0
		.amdhsa_exception_fp_ieee_invalid_op 0
		.amdhsa_exception_fp_denorm_src 0
		.amdhsa_exception_fp_ieee_div_zero 0
		.amdhsa_exception_fp_ieee_overflow 0
		.amdhsa_exception_fp_ieee_underflow 0
		.amdhsa_exception_fp_ieee_inexact 0
		.amdhsa_exception_int_div_zero 0
	.end_amdhsa_kernel
	.text
.Lfunc_end2:
	.size	rms_norm_residual_scale, .Lfunc_end2-rms_norm_residual_scale
                                        ; -- End function
	.section	.AMDGPU.csdata,"",@progbits
; Kernel info:
; codeLenInByte = 992
; NumSgprs: 20
; NumVgprs: 9
; ScratchSize: 0
; MemoryBound: 0
; FloatMode: 240
; IeeeMode: 1
; LDSByteSize: 132 bytes/workgroup (compile time only)
; SGPRBlocks: 2
; VGPRBlocks: 1
; NumSGPRsForWavesPerEU: 20
; NumVGPRsForWavesPerEU: 9
; Occupancy: 16
; WaveLimiterHint : 0
; COMPUTE_PGM_RSRC2:SCRATCH_EN: 0
; COMPUTE_PGM_RSRC2:USER_SGPR: 15
; COMPUTE_PGM_RSRC2:TRAP_HANDLER: 0
; COMPUTE_PGM_RSRC2:TGID_X_EN: 1
; COMPUTE_PGM_RSRC2:TGID_Y_EN: 0
; COMPUTE_PGM_RSRC2:TGID_Z_EN: 0
; COMPUTE_PGM_RSRC2:TIDIG_COMP_CNT: 0
	.text
	.protected	rms_norm_rope           ; -- Begin function rms_norm_rope
	.globl	rms_norm_rope
	.p2align	8
	.type	rms_norm_rope,@function
rms_norm_rope:                          ; @rms_norm_rope
; %bb.0:
	s_clause 0x2
	s_load_b128 s[16:19], s[0:1], 0x20
	s_load_b256 s[4:11], s[0:1], 0x0
	s_load_b32 s12, s[0:1], 0x30
	v_mov_b32_e32 v3, 0
	s_waitcnt lgkmcnt(0)
	s_mul_hi_u32 s21, s16, s15
	s_mul_i32 s20, s16, s15
	v_cmp_gt_u32_e64 s2, s16, v0
	s_lshl_b64 s[14:15], s[20:21], 2
	s_delay_alu instid0(SALU_CYCLE_1) | instskip(SKIP_1) | instid1(VALU_DEP_1)
	s_add_u32 s4, s4, s14
	s_addc_u32 s5, s5, s15
	s_and_saveexec_b32 s3, s2
	s_cbranch_execz .LBB3_4
; %bb.1:
	s_load_b32 s13, s[0:1], 0x44
	v_dual_mov_b32 v2, 0 :: v_dual_mov_b32 v3, 0
	v_mov_b32_e32 v1, v0
	s_waitcnt lgkmcnt(0)
	s_and_b32 s20, s13, 0xffff
	s_mov_b32 s13, 0
.LBB3_2:                                ; =>This Inner Loop Header: Depth=1
	s_delay_alu instid0(VALU_DEP_1) | instskip(SKIP_1) | instid1(VALU_DEP_2)
	v_lshlrev_b64 v[4:5], 2, v[1:2]
	v_add_nc_u32_e32 v1, s20, v1
	v_add_co_u32 v4, vcc_lo, s4, v4
	s_delay_alu instid0(VALU_DEP_3) | instskip(NEXT) | instid1(VALU_DEP_3)
	v_add_co_ci_u32_e32 v5, vcc_lo, s5, v5, vcc_lo
	v_cmp_le_u32_e32 vcc_lo, s16, v1
	global_load_b32 v4, v[4:5], off
	s_or_b32 s13, vcc_lo, s13
	s_waitcnt vmcnt(0)
	v_fmac_f32_e32 v3, v4, v4
	s_and_not1_b32 exec_lo, exec_lo, s13
	s_cbranch_execnz .LBB3_2
; %bb.3:
	s_or_b32 exec_lo, exec_lo, s13
.LBB3_4:
	s_delay_alu instid0(SALU_CYCLE_1) | instskip(SKIP_2) | instid1(VALU_DEP_1)
	s_or_b32 exec_lo, exec_lo, s3
	v_mbcnt_lo_u32_b32 v5, -1, 0
	s_mov_b32 s3, exec_lo
	v_cmp_gt_u32_e32 vcc_lo, 16, v5
	v_cndmask_b32_e64 v1, 0, 1, vcc_lo
	v_cmp_gt_u32_e32 vcc_lo, 24, v5
	s_delay_alu instid0(VALU_DEP_2) | instskip(SKIP_2) | instid1(VALU_DEP_3)
	v_lshlrev_b32_e32 v1, 4, v1
	v_cndmask_b32_e64 v2, 0, 1, vcc_lo
	v_cmp_gt_u32_e32 vcc_lo, 28, v5
	v_add_lshl_u32 v1, v1, v5, 2
	s_delay_alu instid0(VALU_DEP_3)
	v_lshlrev_b32_e32 v2, 3, v2
	ds_bpermute_b32 v4, v1, v3
	v_add_lshl_u32 v2, v2, v5, 2
	s_waitcnt lgkmcnt(0)
	v_add_f32_e32 v4, v3, v4
	v_cndmask_b32_e64 v3, 0, 1, vcc_lo
	v_cmp_gt_u32_e32 vcc_lo, 30, v5
	ds_bpermute_b32 v6, v2, v4
	s_waitcnt lgkmcnt(0)
	v_dual_add_f32 v6, v4, v6 :: v_dual_lshlrev_b32 v3, 2, v3
	s_delay_alu instid0(VALU_DEP_1) | instskip(SKIP_4) | instid1(VALU_DEP_1)
	v_add_lshl_u32 v3, v3, v5, 2
	v_cndmask_b32_e64 v4, 0, 1, vcc_lo
	v_cmp_ne_u32_e32 vcc_lo, 31, v5
	ds_bpermute_b32 v7, v3, v6
	v_lshlrev_b32_e32 v4, 1, v4
	v_add_lshl_u32 v4, v4, v5, 2
	v_add_co_ci_u32_e32 v5, vcc_lo, 0, v5, vcc_lo
	s_waitcnt lgkmcnt(0)
	s_delay_alu instid0(VALU_DEP_1)
	v_dual_add_f32 v6, v6, v7 :: v_dual_lshlrev_b32 v5, 2, v5
	ds_bpermute_b32 v7, v4, v6
	s_waitcnt lgkmcnt(0)
	v_dual_add_f32 v6, v6, v7 :: v_dual_and_b32 v7, 31, v0
	ds_bpermute_b32 v8, v5, v6
	v_cmpx_eq_u32_e32 0, v7
	s_cbranch_execz .LBB3_6
; %bb.5:
	s_waitcnt lgkmcnt(0)
	v_add_f32_e32 v6, v6, v8
	v_lshrrev_b32_e32 v8, 3, v0
	ds_store_b32 v8, v6
.LBB3_6:
	s_or_b32 exec_lo, exec_lo, s3
	s_waitcnt lgkmcnt(0)
	s_barrier
	buffer_gl0_inv
	s_load_b32 s0, s[0:1], 0x44
	v_mov_b32_e32 v6, 0
	s_waitcnt lgkmcnt(0)
	s_and_b32 s3, s0, 0xffff
	s_delay_alu instid0(SALU_CYCLE_1) | instskip(NEXT) | instid1(SALU_CYCLE_1)
	s_add_i32 s0, s3, 31
	s_lshr_b32 s0, s0, 5
	s_delay_alu instid0(SALU_CYCLE_1)
	v_cmp_gt_u32_e32 vcc_lo, s0, v0
	s_and_saveexec_b32 s0, vcc_lo
	s_cbranch_execz .LBB3_8
; %bb.7:
	v_lshlrev_b32_e32 v6, 2, v7
	ds_load_b32 v6, v6
.LBB3_8:
	s_or_b32 exec_lo, exec_lo, s0
	s_delay_alu instid0(SALU_CYCLE_1)
	s_mov_b32 s0, exec_lo
	v_cmpx_gt_u32_e32 32, v0
	s_cbranch_execz .LBB3_10
; %bb.9:
	s_waitcnt lgkmcnt(0)
	ds_bpermute_b32 v1, v1, v6
	s_waitcnt lgkmcnt(0)
	v_add_f32_e32 v1, v6, v1
	ds_bpermute_b32 v2, v2, v1
	s_waitcnt lgkmcnt(0)
	v_add_f32_e32 v1, v1, v2
	;; [unrolled: 3-line block ×5, first 2 shown]
.LBB3_10:
	s_or_b32 exec_lo, exec_lo, s0
	s_delay_alu instid0(SALU_CYCLE_1)
	s_mov_b32 s0, exec_lo
	v_cmpx_eq_u32_e32 0, v0
	s_cbranch_execz .LBB3_12
; %bb.11:
	v_cvt_f32_u32_e32 v1, s16
	s_waitcnt lgkmcnt(0)
	s_delay_alu instid0(VALU_DEP_1) | instskip(SKIP_1) | instid1(VALU_DEP_2)
	v_div_scale_f32 v2, null, v1, v1, v6
	v_div_scale_f32 v5, vcc_lo, v6, v1, v6
	v_rcp_f32_e32 v3, v2
	s_waitcnt_depctr 0xfff
	v_fma_f32 v4, -v2, v3, 1.0
	s_delay_alu instid0(VALU_DEP_1) | instskip(NEXT) | instid1(VALU_DEP_1)
	v_fmac_f32_e32 v3, v4, v3
	v_mul_f32_e32 v4, v5, v3
	s_delay_alu instid0(VALU_DEP_1) | instskip(NEXT) | instid1(VALU_DEP_1)
	v_fma_f32 v7, -v2, v4, v5
	v_fmac_f32_e32 v4, v7, v3
	s_delay_alu instid0(VALU_DEP_1) | instskip(NEXT) | instid1(VALU_DEP_1)
	v_fma_f32 v2, -v2, v4, v5
	v_div_fmas_f32 v2, v2, v3, v4
	s_delay_alu instid0(VALU_DEP_1) | instskip(NEXT) | instid1(VALU_DEP_1)
	v_div_fixup_f32 v1, v2, v1, v6
	v_add_f32_e32 v1, s17, v1
	s_delay_alu instid0(VALU_DEP_1) | instskip(SKIP_1) | instid1(VALU_DEP_2)
	v_mul_f32_e32 v2, 0x4b800000, v1
	v_cmp_gt_f32_e32 vcc_lo, 0x800000, v1
	v_cndmask_b32_e32 v1, v1, v2, vcc_lo
	s_delay_alu instid0(VALU_DEP_1) | instskip(SKIP_2) | instid1(VALU_DEP_1)
	v_rsq_f32_e32 v1, v1
	s_waitcnt_depctr 0xfff
	v_mul_f32_e32 v2, 0x45800000, v1
	v_dual_cndmask_b32 v1, v1, v2 :: v_dual_mov_b32 v2, 0
	ds_store_b32 v2, v1 offset:128
.LBB3_12:
	s_or_b32 exec_lo, exec_lo, s0
	s_waitcnt lgkmcnt(0)
	s_barrier
	buffer_gl0_inv
	s_and_saveexec_b32 s0, s2
	s_cbranch_execz .LBB3_15
; %bb.13:
	v_dual_mov_b32 v2, 0 :: v_dual_mov_b32 v1, v0
	v_lshl_add_u32 v4, v0, 2, 0x84
	s_lshl_b32 s1, s3, 2
	s_mov_b32 s2, 0
	ds_load_b32 v3, v2 offset:128
	.p2align	6
.LBB3_14:                               ; =>This Inner Loop Header: Depth=1
	v_lshlrev_b64 v[5:6], 2, v[1:2]
	v_add_nc_u32_e32 v1, s3, v1
	s_delay_alu instid0(VALU_DEP_2) | instskip(NEXT) | instid1(VALU_DEP_3)
	v_add_co_u32 v7, vcc_lo, s4, v5
	v_add_co_ci_u32_e32 v8, vcc_lo, s5, v6, vcc_lo
	v_add_co_u32 v5, vcc_lo, s6, v5
	v_add_co_ci_u32_e32 v6, vcc_lo, s7, v6, vcc_lo
	global_load_b32 v7, v[7:8], off
	global_load_b32 v5, v[5:6], off
	v_cmp_le_u32_e32 vcc_lo, s16, v1
	s_or_b32 s2, vcc_lo, s2
	s_waitcnt vmcnt(1) lgkmcnt(0)
	v_mul_f32_e32 v6, v3, v7
	s_waitcnt vmcnt(0)
	s_delay_alu instid0(VALU_DEP_1)
	v_mul_f32_e32 v5, v5, v6
	ds_store_b32 v4, v5
	v_add_nc_u32_e32 v4, s1, v4
	s_and_not1_b32 exec_lo, exec_lo, s2
	s_cbranch_execnz .LBB3_14
.LBB3_15:
	s_or_b32 exec_lo, exec_lo, s0
	s_mov_b32 s13, 0
	s_mov_b32 s7, exec_lo
	s_lshl_b64 s[0:1], s[12:13], 2
	s_waitcnt lgkmcnt(0)
	s_add_u32 s0, s10, s0
	s_addc_u32 s1, s11, s1
	s_add_u32 s4, s0, s14
	s_addc_u32 s5, s1, s15
	s_lshr_b32 s6, s18, 1
	s_barrier
	buffer_gl0_inv
	v_cmpx_gt_u32_e64 s6, v0
	s_cbranch_execz .LBB3_26
; %bb.16:
	v_dual_mov_b32 v2, 0 :: v_dual_lshlrev_b32 v1, 2, v0
	v_cvt_f32_u32_e32 v5, s19
	s_lshl_b32 s10, s3, 2
	s_lshl_b32 s11, s6, 2
	s_delay_alu instid0(VALU_DEP_2)
	v_add_nc_u32_e32 v6, 0x84, v1
	v_dual_mov_b32 v4, v2 :: v_dual_mov_b32 v7, v0
	v_mov_b32_e32 v3, v1
	s_mov_b32 s12, 0x7fffff
	s_mov_b32 s14, 0xb94c1982
	;; [unrolled: 1-line block ×3, first 2 shown]
	s_branch .LBB3_18
.LBB3_17:                               ;   in Loop: Header=BB3_18 Depth=1
	s_or_b32 exec_lo, exec_lo, s0
	v_dual_mul_f32 v14, v12, v12 :: v_dual_and_b32 v15, 1, v13
	s_delay_alu instid0(VALU_DEP_2) | instskip(SKIP_2) | instid1(VALU_DEP_4)
	v_mul_f32_e32 v17, v1, v1
	v_xor_b32_e32 v11, v11, v10
	v_and_b32_e32 v20, 1, v16
	v_fmaak_f32 v18, s14, v14, 0x3c0881c4
	v_fmaak_f32 v19, s15, v14, 0xbab64f3b
	v_lshlrev_b32_e32 v13, 30, v13
	v_dual_fmaak_f32 v21, s14, v17, 0x3c0881c4 :: v_dual_lshlrev_b32 v16, 30, v16
	v_fmaak_f32 v22, s15, v17, 0xbab64f3b
	v_fmaak_f32 v18, v14, v18, 0xbe2aaa9d
	;; [unrolled: 1-line block ×3, first 2 shown]
	s_delay_alu instid0(VALU_DEP_4)
	v_fmaak_f32 v21, v17, v21, 0xbe2aaa9d
	v_cmp_eq_u32_e32 vcc_lo, 0, v15
	v_fmaak_f32 v22, v17, v22, 0x3d2aabf7
	v_mul_f32_e32 v18, v14, v18
	v_fmaak_f32 v19, v14, v19, 0xbf000004
	v_and_b32_e32 v13, 0x80000000, v13
	v_dual_mul_f32 v21, v17, v21 :: v_dual_and_b32 v16, 0x80000000, v16
	v_fmaak_f32 v22, v17, v22, 0xbf000004
	v_fmac_f32_e32 v12, v12, v18
	v_fma_f32 v14, v14, v19, 1.0
	v_add_nc_u32_e32 v6, s10, v6
	s_delay_alu instid0(VALU_DEP_4) | instskip(NEXT) | instid1(VALU_DEP_3)
	v_fma_f32 v17, v17, v22, 1.0
	v_cndmask_b32_e64 v12, -v12, v14, vcc_lo
	v_cmp_eq_u32_e32 vcc_lo, 0, v20
	s_delay_alu instid0(VALU_DEP_2) | instskip(SKIP_1) | instid1(VALU_DEP_1)
	v_xor_b32_e32 v12, v13, v12
	v_fmac_f32_e32 v1, v1, v21
	v_cndmask_b32_e32 v1, v17, v1, vcc_lo
	v_cmp_class_f32_e64 vcc_lo, v10, 0x1f8
	s_delay_alu instid0(VALU_DEP_2) | instskip(SKIP_3) | instid1(VALU_DEP_4)
	v_xor3_b32 v11, v11, v16, v1
	v_cndmask_b32_e32 v14, 0x7fc00000, v12, vcc_lo
	v_add_nc_u32_e32 v1, s6, v7
	v_add_nc_u32_e32 v7, s3, v7
	v_cndmask_b32_e32 v12, 0x7fc00000, v11, vcc_lo
	s_delay_alu instid0(VALU_DEP_3) | instskip(SKIP_1) | instid1(VALU_DEP_2)
	v_lshlrev_b64 v[10:11], 2, v[1:2]
	s_waitcnt lgkmcnt(1)
	v_mul_f32_e32 v15, v8, v12
	s_waitcnt lgkmcnt(0)
	s_delay_alu instid0(VALU_DEP_1) | instskip(SKIP_3) | instid1(VALU_DEP_3)
	v_fmac_f32_e32 v15, v9, v14
	v_mul_f32_e32 v1, v9, v12
	v_add_co_u32 v12, vcc_lo, s4, v3
	v_add_co_ci_u32_e32 v13, vcc_lo, s5, v4, vcc_lo
	v_fma_f32 v1, v8, v14, -v1
	v_add_co_u32 v8, vcc_lo, s4, v10
	v_add_co_ci_u32_e32 v9, vcc_lo, s5, v11, vcc_lo
	v_cmp_le_u32_e32 vcc_lo, s6, v7
	v_add_co_u32 v3, s0, v3, s10
	s_delay_alu instid0(VALU_DEP_1)
	v_add_co_ci_u32_e64 v4, s0, 0, v4, s0
	s_or_b32 s13, vcc_lo, s13
	s_clause 0x1
	global_store_b32 v[12:13], v1, off
	global_store_b32 v[8:9], v15, off
	s_and_not1_b32 exec_lo, exec_lo, s13
	s_cbranch_execz .LBB3_26
.LBB3_18:                               ; =>This Inner Loop Header: Depth=1
	v_add_co_u32 v8, vcc_lo, s8, v3
	v_add_co_ci_u32_e32 v9, vcc_lo, s9, v4, vcc_lo
                                        ; implicit-def: $vgpr13
                                        ; implicit-def: $vgpr12
	global_load_b32 v1, v[8:9], off
	s_waitcnt vmcnt(0)
	v_dual_mul_f32 v10, v1, v5 :: v_dual_add_nc_u32 v9, s11, v6
	ds_load_b32 v8, v6
	ds_load_b32 v9, v9
	v_and_b32_e32 v11, 0x7fffffff, v10
	v_cmp_ngt_f32_e64 s17, 0x48000000, |v10|
	s_delay_alu instid0(VALU_DEP_2) | instskip(SKIP_1) | instid1(VALU_DEP_2)
	v_lshrrev_b32_e32 v1, 23, v11
	v_and_or_b32 v14, v11, s12, 0x800000
	v_add_nc_u32_e32 v15, 0xffffff88, v1
	s_delay_alu instid0(VALU_DEP_4) | instskip(NEXT) | instid1(SALU_CYCLE_1)
	s_and_saveexec_b32 s0, s17
	s_xor_b32 s19, exec_lo, s0
	s_cbranch_execz .LBB3_20
; %bb.19:                               ;   in Loop: Header=BB3_18 Depth=1
	v_mad_u64_u32 v[12:13], null, 0xfe5163ab, v14, 0
	v_cmp_lt_u32_e32 vcc_lo, 63, v15
	s_delay_alu instid0(VALU_DEP_2) | instskip(SKIP_1) | instid1(VALU_DEP_2)
	v_mov_b32_e32 v1, v13
	v_cndmask_b32_e64 v13, 0, 0xffffffc0, vcc_lo
	v_mad_u64_u32 v[16:17], null, 0x3c439041, v14, v[1:2]
	s_delay_alu instid0(VALU_DEP_2) | instskip(NEXT) | instid1(VALU_DEP_1)
	v_add_nc_u32_e32 v13, v13, v15
	v_cmp_lt_u32_e64 s0, 31, v13
	s_delay_alu instid0(VALU_DEP_3) | instskip(NEXT) | instid1(VALU_DEP_2)
	v_mov_b32_e32 v1, v17
	v_cndmask_b32_e64 v22, 0, 0xffffffe0, s0
	s_delay_alu instid0(VALU_DEP_2) | instskip(NEXT) | instid1(VALU_DEP_2)
	v_mad_u64_u32 v[17:18], null, 0xdb629599, v14, v[1:2]
	v_add_nc_u32_e32 v13, v22, v13
	s_delay_alu instid0(VALU_DEP_2) | instskip(NEXT) | instid1(VALU_DEP_2)
	v_dual_mov_b32 v1, v18 :: v_dual_cndmask_b32 v12, v17, v12
	v_cmp_lt_u32_e64 s1, 31, v13
	s_delay_alu instid0(VALU_DEP_2) | instskip(NEXT) | instid1(VALU_DEP_1)
	v_mad_u64_u32 v[18:19], null, 0xf534ddc0, v14, v[1:2]
	v_mov_b32_e32 v1, v19
	s_delay_alu instid0(VALU_DEP_1) | instskip(NEXT) | instid1(VALU_DEP_1)
	v_mad_u64_u32 v[19:20], null, 0xfc2757d1, v14, v[1:2]
	v_mov_b32_e32 v1, v20
	s_delay_alu instid0(VALU_DEP_1) | instskip(NEXT) | instid1(VALU_DEP_1)
	v_mad_u64_u32 v[20:21], null, 0x4e441529, v14, v[1:2]
	v_mov_b32_e32 v1, v21
	s_delay_alu instid0(VALU_DEP_2) | instskip(NEXT) | instid1(VALU_DEP_2)
	v_cndmask_b32_e32 v23, v20, v18, vcc_lo
	v_mad_u64_u32 v[21:22], null, 0xa2f9836e, v14, v[1:2]
	v_cndmask_b32_e64 v1, 0, 0xffffffe0, s1
	s_delay_alu instid0(VALU_DEP_1) | instskip(NEXT) | instid1(VALU_DEP_3)
	v_add_nc_u32_e32 v1, v1, v13
	v_dual_cndmask_b32 v21, v21, v19 :: v_dual_cndmask_b32 v20, v22, v20
	v_cndmask_b32_e32 v19, v19, v17, vcc_lo
	v_cndmask_b32_e32 v13, v18, v16, vcc_lo
	s_delay_alu instid0(VALU_DEP_4) | instskip(NEXT) | instid1(VALU_DEP_4)
	v_cmp_eq_u32_e64 s2, 0, v1
	v_cndmask_b32_e64 v16, v21, v23, s0
	v_cndmask_b32_e64 v18, v20, v21, s0
	;; [unrolled: 1-line block ×3, first 2 shown]
	v_sub_nc_u32_e32 v21, 32, v1
	v_cndmask_b32_e64 v19, v19, v13, s0
	v_cndmask_b32_e64 v12, v13, v12, s0
	v_cndmask_b32_e64 v18, v18, v16, s1
	v_cndmask_b32_e64 v16, v16, v20, s1
	s_delay_alu instid0(VALU_DEP_4) | instskip(NEXT) | instid1(VALU_DEP_4)
	v_cndmask_b32_e64 v20, v20, v19, s1
	v_cndmask_b32_e64 v12, v19, v12, s1
	s_delay_alu instid0(VALU_DEP_3) | instskip(NEXT) | instid1(VALU_DEP_3)
	v_alignbit_b32 v22, v18, v16, v21
	v_alignbit_b32 v23, v16, v20, v21
	s_delay_alu instid0(VALU_DEP_3) | instskip(NEXT) | instid1(VALU_DEP_3)
	v_alignbit_b32 v21, v20, v12, v21
	v_cndmask_b32_e64 v1, v22, v18, s2
	s_delay_alu instid0(VALU_DEP_3) | instskip(NEXT) | instid1(VALU_DEP_3)
	v_cndmask_b32_e64 v16, v23, v16, s2
	v_cndmask_b32_e64 v20, v21, v20, s2
	s_delay_alu instid0(VALU_DEP_3) | instskip(NEXT) | instid1(VALU_DEP_3)
	v_bfe_u32 v17, v1, 29, 1
	v_alignbit_b32 v13, v1, v16, 30
	s_delay_alu instid0(VALU_DEP_3) | instskip(SKIP_1) | instid1(VALU_DEP_4)
	v_alignbit_b32 v16, v16, v20, 30
	v_alignbit_b32 v12, v20, v12, 30
	v_sub_nc_u32_e32 v18, 0, v17
	s_delay_alu instid0(VALU_DEP_1) | instskip(SKIP_3) | instid1(VALU_DEP_4)
	v_xor_b32_e32 v19, v13, v18
	v_cmp_ne_u32_e32 vcc_lo, v13, v18
	v_xor_b32_e32 v16, v16, v18
	v_xor_b32_e32 v12, v12, v18
	v_clz_i32_u32_e32 v22, v19
	s_delay_alu instid0(VALU_DEP_1) | instskip(NEXT) | instid1(VALU_DEP_1)
	v_add_nc_u32_e32 v21, 1, v22
	v_cndmask_b32_e32 v13, 33, v21, vcc_lo
	s_delay_alu instid0(VALU_DEP_1) | instskip(NEXT) | instid1(VALU_DEP_1)
	v_sub_nc_u32_e32 v20, 32, v13
	v_alignbit_b32 v18, v19, v16, v20
	v_alignbit_b32 v12, v16, v12, v20
	v_lshrrev_b32_e32 v16, 29, v1
	v_lshrrev_b32_e32 v1, 30, v1
	s_delay_alu instid0(VALU_DEP_3) | instskip(NEXT) | instid1(VALU_DEP_3)
	v_alignbit_b32 v19, v18, v12, 9
	v_lshlrev_b32_e32 v16, 31, v16
	v_alignbit_b32 v18, v13, v18, 9
	s_delay_alu instid0(VALU_DEP_3) | instskip(NEXT) | instid1(VALU_DEP_2)
	v_clz_i32_u32_e32 v20, v19
	v_or_b32_e32 v18, v18, v16
	v_or_b32_e32 v16, 0x33800000, v16
	s_delay_alu instid0(VALU_DEP_3) | instskip(NEXT) | instid1(VALU_DEP_3)
	v_min_u32_e32 v20, 32, v20
	v_xor_b32_e32 v18, 1.0, v18
	s_delay_alu instid0(VALU_DEP_2) | instskip(SKIP_1) | instid1(VALU_DEP_3)
	v_sub_nc_u32_e32 v21, 31, v20
	v_add_lshl_u32 v13, v20, v13, 23
	v_mul_f32_e32 v20, 0x3fc90fda, v18
	s_delay_alu instid0(VALU_DEP_3) | instskip(NEXT) | instid1(VALU_DEP_3)
	v_alignbit_b32 v12, v19, v12, v21
	v_sub_nc_u32_e32 v13, v16, v13
	s_delay_alu instid0(VALU_DEP_3) | instskip(NEXT) | instid1(VALU_DEP_3)
	v_fma_f32 v16, 0x3fc90fda, v18, -v20
	v_lshrrev_b32_e32 v12, 9, v12
	s_delay_alu instid0(VALU_DEP_2) | instskip(NEXT) | instid1(VALU_DEP_2)
	v_fmac_f32_e32 v16, 0x33a22168, v18
	v_or_b32_e32 v12, v13, v12
	s_delay_alu instid0(VALU_DEP_1) | instskip(NEXT) | instid1(VALU_DEP_1)
	v_dual_fmac_f32 v16, 0x3fc90fda, v12 :: v_dual_add_nc_u32 v13, v17, v1
	v_add_f32_e32 v12, v20, v16
.LBB3_20:                               ;   in Loop: Header=BB3_18 Depth=1
	s_or_saveexec_b32 s0, s19
	v_mul_f32_e64 v1, 0x3f22f983, |v10|
	s_delay_alu instid0(VALU_DEP_1)
	v_rndne_f32_e32 v17, v1
	s_xor_b32 exec_lo, exec_lo, s0
; %bb.21:                               ;   in Loop: Header=BB3_18 Depth=1
	s_delay_alu instid0(VALU_DEP_1) | instskip(SKIP_1) | instid1(VALU_DEP_2)
	v_fma_f32 v12, 0xbfc90fda, v17, |v10|
	v_cvt_i32_f32_e32 v13, v17
	v_fmac_f32_e32 v12, 0xb3a22168, v17
	s_delay_alu instid0(VALU_DEP_1)
	v_fmac_f32_e32 v12, 0xa7c234c4, v17
; %bb.22:                               ;   in Loop: Header=BB3_18 Depth=1
	s_or_b32 exec_lo, exec_lo, s0
                                        ; implicit-def: $vgpr16
                                        ; implicit-def: $vgpr1
	s_and_saveexec_b32 s0, s17
	s_delay_alu instid0(SALU_CYCLE_1)
	s_xor_b32 s17, exec_lo, s0
	s_cbranch_execz .LBB3_24
; %bb.23:                               ;   in Loop: Header=BB3_18 Depth=1
	v_mad_u64_u32 v[16:17], null, 0xfe5163ab, v14, 0
	v_cmp_lt_u32_e32 vcc_lo, 63, v15
	v_cndmask_b32_e64 v22, 0, 0xffffffc0, vcc_lo
	s_delay_alu instid0(VALU_DEP_3) | instskip(NEXT) | instid1(VALU_DEP_2)
	v_mov_b32_e32 v1, v17
	v_add_nc_u32_e32 v15, v22, v15
	s_delay_alu instid0(VALU_DEP_2) | instskip(NEXT) | instid1(VALU_DEP_2)
	v_mad_u64_u32 v[17:18], null, 0x3c439041, v14, v[1:2]
	v_cmp_lt_u32_e64 s0, 31, v15
	s_delay_alu instid0(VALU_DEP_2) | instskip(NEXT) | instid1(VALU_DEP_2)
	v_mov_b32_e32 v1, v18
	v_cndmask_b32_e64 v23, 0, 0xffffffe0, s0
	s_delay_alu instid0(VALU_DEP_2) | instskip(NEXT) | instid1(VALU_DEP_2)
	v_mad_u64_u32 v[18:19], null, 0xdb629599, v14, v[1:2]
	v_add_nc_u32_e32 v15, v23, v15
	s_delay_alu instid0(VALU_DEP_1) | instskip(NEXT) | instid1(VALU_DEP_3)
	v_cmp_lt_u32_e64 s1, 31, v15
	v_dual_mov_b32 v1, v19 :: v_dual_cndmask_b32 v16, v18, v16
	s_delay_alu instid0(VALU_DEP_1) | instskip(NEXT) | instid1(VALU_DEP_1)
	v_mad_u64_u32 v[19:20], null, 0xf534ddc0, v14, v[1:2]
	v_mov_b32_e32 v1, v20
	s_delay_alu instid0(VALU_DEP_1) | instskip(NEXT) | instid1(VALU_DEP_1)
	v_mad_u64_u32 v[20:21], null, 0xfc2757d1, v14, v[1:2]
	v_mov_b32_e32 v1, v21
	;; [unrolled: 3-line block ×3, first 2 shown]
	s_delay_alu instid0(VALU_DEP_1) | instskip(SKIP_1) | instid1(VALU_DEP_4)
	v_mad_u64_u32 v[22:23], null, 0xa2f9836e, v14, v[1:2]
	v_cndmask_b32_e64 v1, 0, 0xffffffe0, s1
	v_cndmask_b32_e32 v14, v21, v19, vcc_lo
	s_delay_alu instid0(VALU_DEP_2) | instskip(NEXT) | instid1(VALU_DEP_4)
	v_dual_cndmask_b32 v22, v22, v20 :: v_dual_add_nc_u32 v1, v1, v15
	v_dual_cndmask_b32 v21, v23, v21 :: v_dual_cndmask_b32 v20, v20, v18
	v_cndmask_b32_e32 v15, v19, v17, vcc_lo
	s_delay_alu instid0(VALU_DEP_3) | instskip(NEXT) | instid1(VALU_DEP_4)
	v_cmp_eq_u32_e64 s2, 0, v1
	v_cndmask_b32_e64 v17, v22, v14, s0
	s_delay_alu instid0(VALU_DEP_4)
	v_cndmask_b32_e64 v19, v21, v22, s0
	v_cndmask_b32_e64 v14, v14, v20, s0
	v_sub_nc_u32_e32 v21, 32, v1
	v_cndmask_b32_e64 v20, v20, v15, s0
	v_cndmask_b32_e64 v15, v15, v16, s0
	;; [unrolled: 1-line block ×4, first 2 shown]
	s_delay_alu instid0(VALU_DEP_4) | instskip(NEXT) | instid1(VALU_DEP_4)
	v_cndmask_b32_e64 v14, v14, v20, s1
	v_cndmask_b32_e64 v15, v20, v15, s1
	s_delay_alu instid0(VALU_DEP_3) | instskip(NEXT) | instid1(VALU_DEP_3)
	v_alignbit_b32 v22, v19, v17, v21
	v_alignbit_b32 v23, v17, v14, v21
	s_delay_alu instid0(VALU_DEP_3) | instskip(NEXT) | instid1(VALU_DEP_3)
	v_alignbit_b32 v21, v14, v15, v21
	v_cndmask_b32_e64 v1, v22, v19, s2
	s_delay_alu instid0(VALU_DEP_3) | instskip(NEXT) | instid1(VALU_DEP_3)
	v_cndmask_b32_e64 v17, v23, v17, s2
	v_cndmask_b32_e64 v14, v21, v14, s2
	s_delay_alu instid0(VALU_DEP_3) | instskip(NEXT) | instid1(VALU_DEP_3)
	v_bfe_u32 v18, v1, 29, 1
	v_alignbit_b32 v16, v1, v17, 30
	s_delay_alu instid0(VALU_DEP_3) | instskip(SKIP_1) | instid1(VALU_DEP_4)
	v_alignbit_b32 v17, v17, v14, 30
	v_alignbit_b32 v14, v14, v15, 30
	v_sub_nc_u32_e32 v19, 0, v18
	s_delay_alu instid0(VALU_DEP_1) | instskip(SKIP_3) | instid1(VALU_DEP_4)
	v_xor_b32_e32 v20, v16, v19
	v_cmp_ne_u32_e32 vcc_lo, v16, v19
	v_xor_b32_e32 v15, v17, v19
	v_xor_b32_e32 v14, v14, v19
	v_clz_i32_u32_e32 v22, v20
	s_delay_alu instid0(VALU_DEP_1) | instskip(NEXT) | instid1(VALU_DEP_1)
	v_add_nc_u32_e32 v21, 1, v22
	v_cndmask_b32_e32 v16, 33, v21, vcc_lo
	s_delay_alu instid0(VALU_DEP_1) | instskip(NEXT) | instid1(VALU_DEP_1)
	v_sub_nc_u32_e32 v17, 32, v16
	v_alignbit_b32 v19, v20, v15, v17
	v_alignbit_b32 v14, v15, v14, v17
	v_lshrrev_b32_e32 v15, 29, v1
	s_delay_alu instid0(VALU_DEP_2) | instskip(NEXT) | instid1(VALU_DEP_2)
	v_alignbit_b32 v17, v19, v14, 9
	v_lshlrev_b32_e32 v15, 31, v15
	v_alignbit_b32 v19, v16, v19, 9
	s_delay_alu instid0(VALU_DEP_3) | instskip(NEXT) | instid1(VALU_DEP_2)
	v_clz_i32_u32_e32 v20, v17
	v_or_b32_e32 v19, v19, v15
	v_or_b32_e32 v15, 0x33800000, v15
	s_delay_alu instid0(VALU_DEP_3) | instskip(NEXT) | instid1(VALU_DEP_3)
	v_min_u32_e32 v20, 32, v20
	v_xor_b32_e32 v19, 1.0, v19
	s_delay_alu instid0(VALU_DEP_2) | instskip(SKIP_1) | instid1(VALU_DEP_3)
	v_sub_nc_u32_e32 v21, 31, v20
	v_add_lshl_u32 v16, v20, v16, 23
	v_mul_f32_e32 v20, 0x3fc90fda, v19
	s_delay_alu instid0(VALU_DEP_3) | instskip(NEXT) | instid1(VALU_DEP_3)
	v_alignbit_b32 v14, v17, v14, v21
	v_sub_nc_u32_e32 v15, v15, v16
	s_delay_alu instid0(VALU_DEP_3) | instskip(NEXT) | instid1(VALU_DEP_3)
	v_fma_f32 v16, 0x3fc90fda, v19, -v20
                                        ; implicit-def: $vgpr17
	v_lshrrev_b32_e32 v14, 9, v14
	s_delay_alu instid0(VALU_DEP_2) | instskip(NEXT) | instid1(VALU_DEP_2)
	v_fmac_f32_e32 v16, 0x33a22168, v19
	v_or_b32_e32 v14, v15, v14
	s_delay_alu instid0(VALU_DEP_1) | instskip(SKIP_1) | instid1(VALU_DEP_1)
	v_fmac_f32_e32 v16, 0x3fc90fda, v14
	v_lshrrev_b32_e32 v14, 30, v1
	v_dual_add_f32 v1, v20, v16 :: v_dual_add_nc_u32 v16, v18, v14
	s_and_not1_saveexec_b32 s0, s17
	s_cbranch_execz .LBB3_17
	s_branch .LBB3_25
.LBB3_24:                               ;   in Loop: Header=BB3_18 Depth=1
	s_and_not1_saveexec_b32 s0, s17
	s_cbranch_execz .LBB3_17
.LBB3_25:                               ;   in Loop: Header=BB3_18 Depth=1
	v_fma_f32 v1, 0xbfc90fda, v17, |v10|
	v_cvt_i32_f32_e32 v16, v17
	s_delay_alu instid0(VALU_DEP_2) | instskip(NEXT) | instid1(VALU_DEP_1)
	v_fmac_f32_e32 v1, 0xb3a22168, v17
	v_fmac_f32_e32 v1, 0xa7c234c4, v17
	s_branch .LBB3_17
.LBB3_26:
	s_or_b32 exec_lo, exec_lo, s7
	v_add_nc_u32_e32 v0, s18, v0
	s_mov_b32 s0, exec_lo
	s_delay_alu instid0(VALU_DEP_1)
	v_cmpx_gt_u32_e64 s16, v0
	s_cbranch_execz .LBB3_29
; %bb.27:
	v_lshl_add_u32 v2, v0, 2, 0x84
	v_mov_b32_e32 v1, 0
	s_lshl_b32 s1, s3, 2
	s_mov_b32 s2, 0
.LBB3_28:                               ; =>This Inner Loop Header: Depth=1
	ds_load_b32 v5, v2
	v_lshlrev_b64 v[3:4], 2, v[0:1]
	v_add_nc_u32_e32 v0, s3, v0
	v_add_nc_u32_e32 v2, s1, v2
	s_delay_alu instid0(VALU_DEP_2) | instskip(NEXT) | instid1(VALU_DEP_4)
	v_cmp_le_u32_e32 vcc_lo, s16, v0
	v_add_co_u32 v3, s0, s4, v3
	s_delay_alu instid0(VALU_DEP_1)
	v_add_co_ci_u32_e64 v4, s0, s5, v4, s0
	s_or_b32 s2, vcc_lo, s2
	s_waitcnt lgkmcnt(0)
	global_store_b32 v[3:4], v5, off
	s_and_not1_b32 exec_lo, exec_lo, s2
	s_cbranch_execnz .LBB3_28
.LBB3_29:
	s_nop 0
	s_sendmsg sendmsg(MSG_DEALLOC_VGPRS)
	s_endpgm
	.section	.rodata,"a",@progbits
	.p2align	6, 0x0
	.amdhsa_kernel rms_norm_rope
		.amdhsa_group_segment_fixed_size 132
		.amdhsa_private_segment_fixed_size 0
		.amdhsa_kernarg_size 312
		.amdhsa_user_sgpr_count 15
		.amdhsa_user_sgpr_dispatch_ptr 0
		.amdhsa_user_sgpr_queue_ptr 0
		.amdhsa_user_sgpr_kernarg_segment_ptr 1
		.amdhsa_user_sgpr_dispatch_id 0
		.amdhsa_user_sgpr_private_segment_size 0
		.amdhsa_wavefront_size32 1
		.amdhsa_uses_dynamic_stack 0
		.amdhsa_enable_private_segment 0
		.amdhsa_system_sgpr_workgroup_id_x 1
		.amdhsa_system_sgpr_workgroup_id_y 0
		.amdhsa_system_sgpr_workgroup_id_z 0
		.amdhsa_system_sgpr_workgroup_info 0
		.amdhsa_system_vgpr_workitem_id 0
		.amdhsa_next_free_vgpr 24
		.amdhsa_next_free_sgpr 22
		.amdhsa_reserve_vcc 1
		.amdhsa_float_round_mode_32 0
		.amdhsa_float_round_mode_16_64 0
		.amdhsa_float_denorm_mode_32 3
		.amdhsa_float_denorm_mode_16_64 3
		.amdhsa_dx10_clamp 1
		.amdhsa_ieee_mode 1
		.amdhsa_fp16_overflow 0
		.amdhsa_workgroup_processor_mode 1
		.amdhsa_memory_ordered 1
		.amdhsa_forward_progress 0
		.amdhsa_shared_vgpr_count 0
		.amdhsa_exception_fp_ieee_invalid_op 0
		.amdhsa_exception_fp_denorm_src 0
		.amdhsa_exception_fp_ieee_div_zero 0
		.amdhsa_exception_fp_ieee_overflow 0
		.amdhsa_exception_fp_ieee_underflow 0
		.amdhsa_exception_fp_ieee_inexact 0
		.amdhsa_exception_int_div_zero 0
	.end_amdhsa_kernel
	.text
.Lfunc_end3:
	.size	rms_norm_rope, .Lfunc_end3-rms_norm_rope
                                        ; -- End function
	.section	.AMDGPU.csdata,"",@progbits
; Kernel info:
; codeLenInByte = 3200
; NumSgprs: 24
; NumVgprs: 24
; ScratchSize: 0
; MemoryBound: 0
; FloatMode: 240
; IeeeMode: 1
; LDSByteSize: 132 bytes/workgroup (compile time only)
; SGPRBlocks: 2
; VGPRBlocks: 2
; NumSGPRsForWavesPerEU: 24
; NumVGPRsForWavesPerEU: 24
; Occupancy: 16
; WaveLimiterHint : 0
; COMPUTE_PGM_RSRC2:SCRATCH_EN: 0
; COMPUTE_PGM_RSRC2:USER_SGPR: 15
; COMPUTE_PGM_RSRC2:TRAP_HANDLER: 0
; COMPUTE_PGM_RSRC2:TGID_X_EN: 1
; COMPUTE_PGM_RSRC2:TGID_Y_EN: 0
; COMPUTE_PGM_RSRC2:TGID_Z_EN: 0
; COMPUTE_PGM_RSRC2:TIDIG_COMP_CNT: 0
	.text
	.protected	dmmv_q4k                ; -- Begin function dmmv_q4k
	.globl	dmmv_q4k
	.p2align	8
	.type	dmmv_q4k,@function
dmmv_q4k:                               ; @dmmv_q4k
; %bb.0:
	s_load_b64 s[2:3], s[0:1], 0x18
	s_add_u32 s8, s0, 24
	s_addc_u32 s9, s1, 0
	s_waitcnt lgkmcnt(0)
	s_cmp_ge_u32 s15, s2
	s_cbranch_scc1 .LBB4_41
; %bb.1:
	s_clause 0x2
	s_load_b64 s[10:11], s[0:1], 0x10
	s_load_b128 s[4:7], s[0:1], 0x0
	s_load_b64 s[8:9], s[8:9], 0x10
	v_mov_b32_e32 v5, 0
	s_mov_b32 s12, exec_lo
	v_cmpx_gt_u32_e64 s3, v0
	s_cbranch_execz .LBB4_31
; %bb.2:
	s_clause 0x1
	s_load_b64 s[16:17], s[0:1], 0x20
	s_load_b32 s2, s[0:1], 0x3c
	s_lshr_b32 s14, s3, 8
	v_dual_mov_b32 v2, 0 :: v_dual_mov_b32 v5, 0
	s_mul_hi_u32 s18, s15, s14
	s_mul_i32 s14, s15, s14
	s_mulk_i32 s18, 0x90
	s_mul_hi_u32 s19, s14, 0x90
	s_mulk_i32 s14, 0x90
	v_mov_b32_e32 v1, v0
	s_mov_b32 s13, 0
	s_waitcnt lgkmcnt(0)
	s_and_b32 s16, s16, -4
	s_delay_alu instid0(SALU_CYCLE_1)
	s_add_u32 s4, s4, s16
	s_addc_u32 s5, s5, 0
	s_add_i32 s19, s19, s18
	s_add_u32 s4, s4, s14
	s_addc_u32 s5, s5, s19
	s_and_b32 s14, s17, -4
	s_delay_alu instid0(SALU_CYCLE_1)
	s_add_u32 s6, s6, s14
	s_addc_u32 s7, s7, 0
	s_and_b32 s14, s2, 0xffff
	s_branch .LBB4_4
.LBB4_3:                                ;   in Loop: Header=BB4_4 Depth=1
	s_or_b32 exec_lo, exec_lo, s2
	v_and_b32_e32 v3, 31, v1
	s_delay_alu instid0(VALU_DEP_1) | instskip(NEXT) | instid1(VALU_DEP_1)
	v_lshl_or_b32 v3, v11, 5, v3
	v_add_co_u32 v3, vcc_lo, v7, v3
	v_add_co_ci_u32_e32 v4, vcc_lo, 0, v8, vcc_lo
	v_cvt_f32_ubyte0_e32 v8, v13
	global_load_u8 v7, v[3:4], off offset:16
	v_lshlrev_b64 v[3:4], 2, v[1:2]
	v_add_nc_u32_e32 v1, s14, v1
	s_delay_alu instid0(VALU_DEP_2) | instskip(NEXT) | instid1(VALU_DEP_3)
	v_add_co_u32 v3, vcc_lo, s6, v3
	v_add_co_ci_u32_e32 v4, vcc_lo, s7, v4, vcc_lo
	v_cmp_eq_u32_e32 vcc_lo, 0, v10
	global_load_b32 v3, v[3:4], off
	s_waitcnt vmcnt(1)
	v_and_b32_e32 v4, 15, v7
	v_lshrrev_b32_e32 v7, 4, v7
	s_delay_alu instid0(VALU_DEP_1) | instskip(SKIP_3) | instid1(VALU_DEP_4)
	v_cndmask_b32_e32 v4, v7, v4, vcc_lo
	v_cvt_f32_ubyte0_e32 v7, v12
	v_mul_f32_e32 v6, v6, v8
	v_cmp_le_u32_e32 vcc_lo, s3, v1
	v_cvt_f32_ubyte0_e32 v4, v4
	s_delay_alu instid0(VALU_DEP_4) | instskip(SKIP_1) | instid1(VALU_DEP_1)
	v_mul_f32_e32 v7, v9, v7
	s_or_b32 s13, vcc_lo, s13
	v_fma_f32 v4, v6, v4, -v7
	s_waitcnt vmcnt(0)
	s_delay_alu instid0(VALU_DEP_1)
	v_fmac_f32_e32 v5, v3, v4
	s_and_not1_b32 exec_lo, exec_lo, s13
	s_cbranch_execz .LBB4_30
.LBB4_4:                                ; =>This Inner Loop Header: Depth=1
	v_lshrrev_b32_e32 v3, 8, v1
	s_mov_b32 s2, exec_lo
	s_delay_alu instid0(VALU_DEP_1) | instskip(NEXT) | instid1(VALU_DEP_1)
	v_mul_u32_u24_e32 v3, 36, v3
	v_lshlrev_b32_e32 v4, 2, v3
	global_load_b32 v3, v4, s[4:5]
	s_waitcnt vmcnt(0)
	v_bfe_u32 v7, v3, 15, 1
	v_bfe_u32 v8, v3, 10, 5
	s_delay_alu instid0(VALU_DEP_2) | instskip(NEXT) | instid1(VALU_DEP_2)
	v_lshlrev_b32_e32 v6, 31, v7
	v_cmpx_lt_i32_e32 30, v8
	s_xor_b32 s2, exec_lo, s2
; %bb.5:                                ;   in Loop: Header=BB4_4 Depth=1
	v_and_b32_e32 v6, 0xffff, v3
	v_lshlrev_b32_e32 v7, 31, v7
                                        ; implicit-def: $vgpr8
	s_delay_alu instid0(VALU_DEP_2) | instskip(NEXT) | instid1(VALU_DEP_1)
	v_lshlrev_b32_e32 v6, 13, v6
	v_or3_b32 v6, v7, v6, 0x7f800000
                                        ; implicit-def: $vgpr7
; %bb.6:                                ;   in Loop: Header=BB4_4 Depth=1
	s_and_not1_saveexec_b32 s2, s2
	s_cbranch_execz .LBB4_14
; %bb.7:                                ;   in Loop: Header=BB4_4 Depth=1
	v_and_b32_e32 v9, 0x3ff, v3
	s_mov_b32 s16, exec_lo
	v_cmpx_ne_u32_e32 0, v8
	s_xor_b32 s16, exec_lo, s16
; %bb.8:                                ;   in Loop: Header=BB4_4 Depth=1
	v_lshlrev_b32_e32 v6, 31, v7
	v_lshlrev_b32_e32 v7, 23, v8
	;; [unrolled: 1-line block ×3, first 2 shown]
                                        ; implicit-def: $vgpr9
	s_delay_alu instid0(VALU_DEP_1) | instskip(NEXT) | instid1(VALU_DEP_1)
	v_or3_b32 v6, v7, v6, v8
                                        ; implicit-def: $vgpr7
	v_add_nc_u32_e32 v6, 0x38000000, v6
; %bb.9:                                ;   in Loop: Header=BB4_4 Depth=1
	s_and_not1_saveexec_b32 s16, s16
	s_cbranch_execz .LBB4_13
; %bb.10:                               ;   in Loop: Header=BB4_4 Depth=1
	s_mov_b32 s17, exec_lo
	v_cmpx_ne_u32_e32 0, v9
	s_xor_b32 s17, exec_lo, s17
; %bb.11:                               ;   in Loop: Header=BB4_4 Depth=1
	v_clz_i32_u32_e32 v6, v9
	v_lshlrev_b32_e32 v7, 31, v7
	s_delay_alu instid0(VALU_DEP_2) | instskip(SKIP_1) | instid1(VALU_DEP_2)
	v_xor_b32_e32 v8, 31, v6
	v_lshlrev_b32_e32 v6, 23, v6
	v_sub_nc_u32_e32 v8, 9, v8
	s_delay_alu instid0(VALU_DEP_1) | instskip(NEXT) | instid1(VALU_DEP_1)
	v_lshlrev_b32_e32 v8, v8, v3
	v_lshlrev_b32_e32 v8, 14, v8
	s_delay_alu instid0(VALU_DEP_1) | instskip(NEXT) | instid1(VALU_DEP_1)
	v_and_or_b32 v7, 0x7fc000, v8, v7
	v_sub_nc_u32_e32 v6, v7, v6
	s_delay_alu instid0(VALU_DEP_1)
	v_add_nc_u32_e32 v6, 0x43000000, v6
; %bb.12:                               ;   in Loop: Header=BB4_4 Depth=1
	s_and_not1_saveexec_b32 s17, s17
	s_delay_alu instid0(SALU_CYCLE_1)
	s_or_b32 exec_lo, exec_lo, s17
.LBB4_13:                               ;   in Loop: Header=BB4_4 Depth=1
	s_delay_alu instid0(SALU_CYCLE_1)
	s_or_b32 exec_lo, exec_lo, s16
.LBB4_14:                               ;   in Loop: Header=BB4_4 Depth=1
	s_delay_alu instid0(SALU_CYCLE_1) | instskip(SKIP_1) | instid1(VALU_DEP_1)
	s_or_b32 exec_lo, exec_lo, s2
	v_add_co_u32 v7, s2, s4, v4
	v_add_co_ci_u32_e64 v8, null, s5, 0, s2
	v_bfe_u32 v10, v3, 26, 5
	v_lshrrev_b32_e32 v4, 16, v3
	s_mov_b32 s2, exec_lo
                                        ; implicit-def: $vgpr9
	s_delay_alu instid0(VALU_DEP_2)
	v_cmpx_lt_i32_e32 30, v10
	s_xor_b32 s2, exec_lo, s2
; %bb.15:                               ;   in Loop: Header=BB4_4 Depth=1
	v_and_b32_e32 v3, 0x80000000, v3
	v_lshlrev_b32_e32 v4, 13, v4
                                        ; implicit-def: $vgpr10
	s_delay_alu instid0(VALU_DEP_1)
	v_or3_b32 v9, v4, v3, 0x7f800000
                                        ; implicit-def: $vgpr4
                                        ; implicit-def: $vgpr3
; %bb.16:                               ;   in Loop: Header=BB4_4 Depth=1
	s_and_not1_saveexec_b32 s2, s2
	s_cbranch_execz .LBB4_26
; %bb.17:                               ;   in Loop: Header=BB4_4 Depth=1
	v_and_b32_e32 v11, 0x3ff, v4
	s_mov_b32 s16, exec_lo
                                        ; implicit-def: $vgpr9
	v_cmpx_ne_u32_e32 0, v10
	s_xor_b32 s16, exec_lo, s16
; %bb.18:                               ;   in Loop: Header=BB4_4 Depth=1
	v_and_b32_e32 v3, 0x80000000, v3
	v_lshlrev_b32_e32 v4, 23, v10
	v_lshlrev_b32_e32 v9, 13, v11
                                        ; implicit-def: $vgpr11
	s_delay_alu instid0(VALU_DEP_1) | instskip(NEXT) | instid1(VALU_DEP_1)
	v_or3_b32 v3, v4, v3, v9
                                        ; implicit-def: $vgpr4
	v_add_nc_u32_e32 v9, 0x38000000, v3
                                        ; implicit-def: $vgpr3
; %bb.19:                               ;   in Loop: Header=BB4_4 Depth=1
	s_and_not1_saveexec_b32 s16, s16
	s_cbranch_execz .LBB4_25
; %bb.20:                               ;   in Loop: Header=BB4_4 Depth=1
	s_mov_b32 s17, exec_lo
                                        ; implicit-def: $vgpr9
	v_cmpx_ne_u32_e32 0, v11
	s_xor_b32 s17, exec_lo, s17
; %bb.21:                               ;   in Loop: Header=BB4_4 Depth=1
	v_clz_i32_u32_e32 v9, v11
	s_delay_alu instid0(VALU_DEP_1) | instskip(SKIP_1) | instid1(VALU_DEP_2)
	v_xor_b32_e32 v10, 31, v9
	v_lshlrev_b32_e32 v9, 23, v9
	v_sub_nc_u32_e32 v10, 9, v10
	s_delay_alu instid0(VALU_DEP_1) | instskip(NEXT) | instid1(VALU_DEP_1)
	v_lshlrev_b32_e32 v4, v10, v4
	v_lshlrev_b32_e32 v4, 14, v4
	s_delay_alu instid0(VALU_DEP_1) | instskip(NEXT) | instid1(VALU_DEP_1)
	v_and_b32_e32 v4, 0x7fc000, v4
	v_and_or_b32 v3, 0x80000000, v3, v4
	s_delay_alu instid0(VALU_DEP_1) | instskip(NEXT) | instid1(VALU_DEP_1)
	v_sub_nc_u32_e32 v3, v3, v9
	v_add_nc_u32_e32 v9, 0x43000000, v3
                                        ; implicit-def: $vgpr3
; %bb.22:                               ;   in Loop: Header=BB4_4 Depth=1
	s_and_not1_saveexec_b32 s17, s17
; %bb.23:                               ;   in Loop: Header=BB4_4 Depth=1
	v_and_b32_e32 v9, 0x80000000, v3
; %bb.24:                               ;   in Loop: Header=BB4_4 Depth=1
	s_or_b32 exec_lo, exec_lo, s17
.LBB4_25:                               ;   in Loop: Header=BB4_4 Depth=1
	s_delay_alu instid0(SALU_CYCLE_1)
	s_or_b32 exec_lo, exec_lo, s16
.LBB4_26:                               ;   in Loop: Header=BB4_4 Depth=1
	s_delay_alu instid0(SALU_CYCLE_1) | instskip(SKIP_2) | instid1(VALU_DEP_1)
	s_or_b32 exec_lo, exec_lo, s2
	v_bfe_u32 v11, v1, 6, 2
	v_bfe_u32 v10, v1, 5, 1
                                        ; implicit-def: $vgpr12
                                        ; implicit-def: $vgpr13
	v_lshl_or_b32 v3, v11, 1, v10
	s_delay_alu instid0(VALU_DEP_1) | instskip(NEXT) | instid1(VALU_DEP_1)
	v_add_co_u32 v3, s2, v7, v3
	v_add_co_ci_u32_e64 v4, s2, 0, v8, s2
	s_mov_b32 s2, exec_lo
	v_cmpx_lt_u32_e32 1, v11
	s_xor_b32 s2, exec_lo, s2
	s_cbranch_execz .LBB4_28
; %bb.27:                               ;   in Loop: Header=BB4_4 Depth=1
	s_clause 0x2
	global_load_u8 v12, v[3:4], off
	global_load_u8 v13, v[3:4], off offset:4
	global_load_u8 v3, v[3:4], off offset:8
	s_waitcnt vmcnt(2)
	v_lshrrev_b16 v4, 2, v12
	s_waitcnt vmcnt(1)
	v_lshrrev_b16 v12, 2, v13
	s_waitcnt vmcnt(0)
	v_and_b32_e32 v13, 15, v3
	v_lshrrev_b16 v3, 4, v3
	v_and_b32_e32 v4, 48, v4
	v_and_b32_e32 v12, 48, v12
	s_delay_alu instid0(VALU_DEP_2) | instskip(NEXT) | instid1(VALU_DEP_2)
	v_or_b32_e32 v13, v4, v13
	v_or_b32_e32 v12, v12, v3
                                        ; implicit-def: $vgpr3_vgpr4
.LBB4_28:                               ;   in Loop: Header=BB4_4 Depth=1
	s_and_not1_saveexec_b32 s2, s2
	s_cbranch_execz .LBB4_3
; %bb.29:                               ;   in Loop: Header=BB4_4 Depth=1
	s_clause 0x1
	global_load_u8 v12, v[3:4], off offset:4
	global_load_u8 v3, v[3:4], off offset:8
	s_waitcnt vmcnt(1)
	v_and_b32_e32 v13, 63, v12
	s_waitcnt vmcnt(0)
	v_and_b32_e32 v12, 63, v3
	s_branch .LBB4_3
.LBB4_30:
	s_or_b32 exec_lo, exec_lo, s13
.LBB4_31:
	s_delay_alu instid0(SALU_CYCLE_1) | instskip(SKIP_2) | instid1(VALU_DEP_1)
	s_or_b32 exec_lo, exec_lo, s12
	v_mbcnt_lo_u32_b32 v4, -1, 0
	s_mov_b32 s2, exec_lo
	v_cmp_gt_u32_e32 vcc_lo, 16, v4
	v_cndmask_b32_e64 v1, 0, 1, vcc_lo
	v_cmp_gt_u32_e32 vcc_lo, 24, v4
	s_delay_alu instid0(VALU_DEP_2) | instskip(SKIP_2) | instid1(VALU_DEP_3)
	v_lshlrev_b32_e32 v1, 4, v1
	v_cndmask_b32_e64 v2, 0, 1, vcc_lo
	v_cmp_gt_u32_e32 vcc_lo, 28, v4
	v_add_lshl_u32 v1, v1, v4, 2
	ds_bpermute_b32 v3, v1, v5
	s_waitcnt lgkmcnt(0)
	v_dual_add_f32 v5, v5, v3 :: v_dual_lshlrev_b32 v2, 3, v2
	s_delay_alu instid0(VALU_DEP_1) | instskip(SKIP_4) | instid1(VALU_DEP_1)
	v_add_lshl_u32 v2, v2, v4, 2
	v_cndmask_b32_e64 v3, 0, 1, vcc_lo
	v_cmp_gt_u32_e32 vcc_lo, 30, v4
	ds_bpermute_b32 v6, v2, v5
	v_lshlrev_b32_e32 v3, 2, v3
	v_add_lshl_u32 v3, v3, v4, 2
	s_waitcnt lgkmcnt(0)
	v_add_f32_e32 v6, v5, v6
	v_cndmask_b32_e64 v5, 0, 1, vcc_lo
	v_cmp_ne_u32_e32 vcc_lo, 31, v4
	ds_bpermute_b32 v7, v3, v6
	v_lshlrev_b32_e32 v5, 1, v5
	v_add_co_ci_u32_e32 v8, vcc_lo, 0, v4, vcc_lo
	s_waitcnt lgkmcnt(0)
	v_add_f32_e32 v6, v6, v7
	s_delay_alu instid0(VALU_DEP_3)
	v_add_lshl_u32 v5, v5, v4, 2
	ds_bpermute_b32 v7, v5, v6
	s_waitcnt lgkmcnt(0)
	v_dual_add_f32 v4, v6, v7 :: v_dual_and_b32 v7, 31, v0
	v_lshlrev_b32_e32 v6, 2, v8
	ds_bpermute_b32 v8, v6, v4
	v_cmpx_eq_u32_e32 0, v7
	s_cbranch_execz .LBB4_33
; %bb.32:
	s_waitcnt lgkmcnt(0)
	v_add_f32_e32 v4, v4, v8
	v_lshrrev_b32_e32 v8, 3, v0
	ds_store_b32 v8, v4
.LBB4_33:
	s_or_b32 exec_lo, exec_lo, s2
	s_waitcnt lgkmcnt(0)
	s_barrier
	buffer_gl0_inv
	s_load_b32 s0, s[0:1], 0x3c
	v_mov_b32_e32 v4, 0
	s_waitcnt lgkmcnt(0)
	s_and_b32 s0, s0, 0xffff
	s_delay_alu instid0(SALU_CYCLE_1) | instskip(NEXT) | instid1(SALU_CYCLE_1)
	s_add_i32 s0, s0, 31
	s_lshr_b32 s0, s0, 5
	s_delay_alu instid0(SALU_CYCLE_1)
	v_cmp_gt_u32_e32 vcc_lo, s0, v0
	s_and_saveexec_b32 s0, vcc_lo
	s_cbranch_execz .LBB4_35
; %bb.34:
	v_lshlrev_b32_e32 v4, 2, v7
	ds_load_b32 v4, v4
.LBB4_35:
	s_or_b32 exec_lo, exec_lo, s0
	s_delay_alu instid0(SALU_CYCLE_1)
	s_mov_b32 s0, exec_lo
	v_cmpx_gt_u32_e32 32, v0
	s_cbranch_execz .LBB4_37
; %bb.36:
	s_waitcnt lgkmcnt(0)
	ds_bpermute_b32 v1, v1, v4
	s_waitcnt lgkmcnt(0)
	v_add_f32_e32 v1, v4, v1
	ds_bpermute_b32 v2, v2, v1
	s_waitcnt lgkmcnt(0)
	v_add_f32_e32 v1, v1, v2
	ds_bpermute_b32 v2, v3, v1
	s_waitcnt lgkmcnt(0)
	v_add_f32_e32 v1, v1, v2
	ds_bpermute_b32 v2, v5, v1
	s_waitcnt lgkmcnt(0)
	v_add_f32_e32 v1, v1, v2
	ds_bpermute_b32 v2, v6, v1
	s_waitcnt lgkmcnt(0)
	v_add_f32_e32 v4, v1, v2
.LBB4_37:
	s_or_b32 exec_lo, exec_lo, s0
	s_mov_b32 s1, 0
	s_mov_b32 s0, exec_lo
	v_cmpx_eq_u32_e32 0, v0
	s_cbranch_execz .LBB4_41
; %bb.38:
	s_lshr_b32 s0, s8, 2
	s_delay_alu instid0(SALU_CYCLE_1) | instskip(NEXT) | instid1(SALU_CYCLE_1)
	s_add_i32 s0, s0, s15
	s_lshl_b64 s[0:1], s[0:1], 2
	s_delay_alu instid0(SALU_CYCLE_1)
	s_add_u32 s0, s10, s0
	s_addc_u32 s1, s11, s1
	s_cmp_eq_u32 s9, 0
	s_cbranch_scc1 .LBB4_40
; %bb.39:
	s_load_b32 s2, s[0:1], 0x0
	s_waitcnt lgkmcnt(0)
	v_add_f32_e32 v4, s2, v4
.LBB4_40:
	v_mov_b32_e32 v0, 0
	s_waitcnt lgkmcnt(0)
	global_store_b32 v0, v4, s[0:1]
.LBB4_41:
	s_nop 0
	s_sendmsg sendmsg(MSG_DEALLOC_VGPRS)
	s_endpgm
	.section	.rodata,"a",@progbits
	.p2align	6, 0x0
	.amdhsa_kernel dmmv_q4k
		.amdhsa_group_segment_fixed_size 128
		.amdhsa_private_segment_fixed_size 0
		.amdhsa_kernarg_size 304
		.amdhsa_user_sgpr_count 15
		.amdhsa_user_sgpr_dispatch_ptr 0
		.amdhsa_user_sgpr_queue_ptr 0
		.amdhsa_user_sgpr_kernarg_segment_ptr 1
		.amdhsa_user_sgpr_dispatch_id 0
		.amdhsa_user_sgpr_private_segment_size 0
		.amdhsa_wavefront_size32 1
		.amdhsa_uses_dynamic_stack 0
		.amdhsa_enable_private_segment 0
		.amdhsa_system_sgpr_workgroup_id_x 1
		.amdhsa_system_sgpr_workgroup_id_y 0
		.amdhsa_system_sgpr_workgroup_id_z 0
		.amdhsa_system_sgpr_workgroup_info 0
		.amdhsa_system_vgpr_workitem_id 0
		.amdhsa_next_free_vgpr 14
		.amdhsa_next_free_sgpr 20
		.amdhsa_reserve_vcc 1
		.amdhsa_float_round_mode_32 0
		.amdhsa_float_round_mode_16_64 0
		.amdhsa_float_denorm_mode_32 3
		.amdhsa_float_denorm_mode_16_64 3
		.amdhsa_dx10_clamp 1
		.amdhsa_ieee_mode 1
		.amdhsa_fp16_overflow 0
		.amdhsa_workgroup_processor_mode 1
		.amdhsa_memory_ordered 1
		.amdhsa_forward_progress 0
		.amdhsa_shared_vgpr_count 0
		.amdhsa_exception_fp_ieee_invalid_op 0
		.amdhsa_exception_fp_denorm_src 0
		.amdhsa_exception_fp_ieee_div_zero 0
		.amdhsa_exception_fp_ieee_overflow 0
		.amdhsa_exception_fp_ieee_underflow 0
		.amdhsa_exception_fp_ieee_inexact 0
		.amdhsa_exception_int_div_zero 0
	.end_amdhsa_kernel
	.text
.Lfunc_end4:
	.size	dmmv_q4k, .Lfunc_end4-dmmv_q4k
                                        ; -- End function
	.section	.AMDGPU.csdata,"",@progbits
; Kernel info:
; codeLenInByte = 1624
; NumSgprs: 22
; NumVgprs: 14
; ScratchSize: 0
; MemoryBound: 0
; FloatMode: 240
; IeeeMode: 1
; LDSByteSize: 128 bytes/workgroup (compile time only)
; SGPRBlocks: 2
; VGPRBlocks: 1
; NumSGPRsForWavesPerEU: 22
; NumVGPRsForWavesPerEU: 14
; Occupancy: 16
; WaveLimiterHint : 0
; COMPUTE_PGM_RSRC2:SCRATCH_EN: 0
; COMPUTE_PGM_RSRC2:USER_SGPR: 15
; COMPUTE_PGM_RSRC2:TRAP_HANDLER: 0
; COMPUTE_PGM_RSRC2:TGID_X_EN: 1
; COMPUTE_PGM_RSRC2:TGID_Y_EN: 0
; COMPUTE_PGM_RSRC2:TGID_Z_EN: 0
; COMPUTE_PGM_RSRC2:TIDIG_COMP_CNT: 0
	.text
	.protected	swiglu                  ; -- Begin function swiglu
	.globl	swiglu
	.p2align	8
	.type	swiglu,@function
swiglu:                                 ; @swiglu
; %bb.0:
	s_clause 0x1
	s_load_b32 s2, s[0:1], 0x2c
	s_load_b32 s3, s[0:1], 0x18
	s_waitcnt lgkmcnt(0)
	s_and_b32 s2, s2, 0xffff
	s_delay_alu instid0(SALU_CYCLE_1) | instskip(SKIP_1) | instid1(VALU_DEP_1)
	v_mad_u64_u32 v[1:2], null, s15, s2, v[0:1]
	s_mov_b32 s2, exec_lo
	v_cmpx_gt_u32_e64 s3, v1
	s_cbranch_execz .LBB5_2
; %bb.1:
	s_load_b128 s[4:7], s[0:1], 0x0
	v_mov_b32_e32 v2, 0
	s_load_b64 s[0:1], s[0:1], 0x10
	s_delay_alu instid0(VALU_DEP_1) | instskip(SKIP_1) | instid1(VALU_DEP_1)
	v_lshlrev_b64 v[0:1], 2, v[1:2]
	s_waitcnt lgkmcnt(0)
	v_add_co_u32 v2, vcc_lo, s4, v0
	s_delay_alu instid0(VALU_DEP_2)
	v_add_co_ci_u32_e32 v3, vcc_lo, s5, v1, vcc_lo
	global_load_b32 v4, v[2:3], off
	v_add_co_u32 v2, vcc_lo, s6, v0
	v_add_co_ci_u32_e32 v3, vcc_lo, s7, v1, vcc_lo
	global_load_b32 v2, v[2:3], off
	s_waitcnt vmcnt(1)
	v_mul_f32_e32 v3, 0xbfb8aa3b, v4
	v_cmp_nlt_f32_e32 vcc_lo, 0x42ce8ed0, v4
	s_delay_alu instid0(VALU_DEP_2) | instskip(SKIP_1) | instid1(VALU_DEP_2)
	v_fma_f32 v5, 0xbfb8aa3b, v4, -v3
	v_rndne_f32_e32 v6, v3
	v_fmamk_f32 v5, v4, 0xb2a5705f, v5
	s_delay_alu instid0(VALU_DEP_2) | instskip(NEXT) | instid1(VALU_DEP_1)
	v_sub_f32_e32 v3, v3, v6
	v_add_f32_e32 v3, v3, v5
	v_cvt_i32_f32_e32 v5, v6
	s_delay_alu instid0(VALU_DEP_2) | instskip(SKIP_2) | instid1(VALU_DEP_1)
	v_exp_f32_e32 v3, v3
	s_waitcnt_depctr 0xfff
	v_ldexp_f32 v3, v3, v5
	v_cndmask_b32_e32 v3, 0, v3, vcc_lo
	v_cmp_ngt_f32_e32 vcc_lo, 0xc2b17218, v4
	s_delay_alu instid0(VALU_DEP_2) | instskip(NEXT) | instid1(VALU_DEP_1)
	v_cndmask_b32_e32 v3, 0x7f800000, v3, vcc_lo
	v_add_f32_e32 v3, 1.0, v3
	s_delay_alu instid0(VALU_DEP_1) | instskip(SKIP_1) | instid1(VALU_DEP_2)
	v_div_scale_f32 v5, null, v3, v3, v4
	v_div_scale_f32 v8, vcc_lo, v4, v3, v4
	v_rcp_f32_e32 v6, v5
	s_waitcnt_depctr 0xfff
	v_fma_f32 v7, -v5, v6, 1.0
	s_delay_alu instid0(VALU_DEP_1) | instskip(NEXT) | instid1(VALU_DEP_1)
	v_fmac_f32_e32 v6, v7, v6
	v_mul_f32_e32 v7, v8, v6
	s_delay_alu instid0(VALU_DEP_1) | instskip(NEXT) | instid1(VALU_DEP_1)
	v_fma_f32 v9, -v5, v7, v8
	v_fmac_f32_e32 v7, v9, v6
	s_delay_alu instid0(VALU_DEP_1) | instskip(NEXT) | instid1(VALU_DEP_1)
	v_fma_f32 v5, -v5, v7, v8
	v_div_fmas_f32 v5, v5, v6, v7
	v_add_co_u32 v0, vcc_lo, s0, v0
	v_add_co_ci_u32_e32 v1, vcc_lo, s1, v1, vcc_lo
	s_delay_alu instid0(VALU_DEP_3) | instskip(SKIP_1) | instid1(VALU_DEP_1)
	v_div_fixup_f32 v3, v5, v3, v4
	s_waitcnt vmcnt(0)
	v_mul_f32_e32 v2, v2, v3
	global_store_b32 v[0:1], v2, off
.LBB5_2:
	s_nop 0
	s_sendmsg sendmsg(MSG_DEALLOC_VGPRS)
	s_endpgm
	.section	.rodata,"a",@progbits
	.p2align	6, 0x0
	.amdhsa_kernel swiglu
		.amdhsa_group_segment_fixed_size 0
		.amdhsa_private_segment_fixed_size 0
		.amdhsa_kernarg_size 288
		.amdhsa_user_sgpr_count 15
		.amdhsa_user_sgpr_dispatch_ptr 0
		.amdhsa_user_sgpr_queue_ptr 0
		.amdhsa_user_sgpr_kernarg_segment_ptr 1
		.amdhsa_user_sgpr_dispatch_id 0
		.amdhsa_user_sgpr_private_segment_size 0
		.amdhsa_wavefront_size32 1
		.amdhsa_uses_dynamic_stack 0
		.amdhsa_enable_private_segment 0
		.amdhsa_system_sgpr_workgroup_id_x 1
		.amdhsa_system_sgpr_workgroup_id_y 0
		.amdhsa_system_sgpr_workgroup_id_z 0
		.amdhsa_system_sgpr_workgroup_info 0
		.amdhsa_system_vgpr_workitem_id 0
		.amdhsa_next_free_vgpr 10
		.amdhsa_next_free_sgpr 16
		.amdhsa_reserve_vcc 1
		.amdhsa_float_round_mode_32 0
		.amdhsa_float_round_mode_16_64 0
		.amdhsa_float_denorm_mode_32 3
		.amdhsa_float_denorm_mode_16_64 3
		.amdhsa_dx10_clamp 1
		.amdhsa_ieee_mode 1
		.amdhsa_fp16_overflow 0
		.amdhsa_workgroup_processor_mode 1
		.amdhsa_memory_ordered 1
		.amdhsa_forward_progress 0
		.amdhsa_shared_vgpr_count 0
		.amdhsa_exception_fp_ieee_invalid_op 0
		.amdhsa_exception_fp_denorm_src 0
		.amdhsa_exception_fp_ieee_div_zero 0
		.amdhsa_exception_fp_ieee_overflow 0
		.amdhsa_exception_fp_ieee_underflow 0
		.amdhsa_exception_fp_ieee_inexact 0
		.amdhsa_exception_int_div_zero 0
	.end_amdhsa_kernel
	.text
.Lfunc_end5:
	.size	swiglu, .Lfunc_end5-swiglu
                                        ; -- End function
	.section	.AMDGPU.csdata,"",@progbits
; Kernel info:
; codeLenInByte = 388
; NumSgprs: 18
; NumVgprs: 10
; ScratchSize: 0
; MemoryBound: 0
; FloatMode: 240
; IeeeMode: 1
; LDSByteSize: 0 bytes/workgroup (compile time only)
; SGPRBlocks: 2
; VGPRBlocks: 1
; NumSGPRsForWavesPerEU: 18
; NumVGPRsForWavesPerEU: 10
; Occupancy: 16
; WaveLimiterHint : 0
; COMPUTE_PGM_RSRC2:SCRATCH_EN: 0
; COMPUTE_PGM_RSRC2:USER_SGPR: 15
; COMPUTE_PGM_RSRC2:TRAP_HANDLER: 0
; COMPUTE_PGM_RSRC2:TGID_X_EN: 1
; COMPUTE_PGM_RSRC2:TGID_Y_EN: 0
; COMPUTE_PGM_RSRC2:TGID_Z_EN: 0
; COMPUTE_PGM_RSRC2:TIDIG_COMP_CNT: 0
	.text
	.protected	scale_accumulate        ; -- Begin function scale_accumulate
	.globl	scale_accumulate
	.p2align	8
	.type	scale_accumulate,@function
scale_accumulate:                       ; @scale_accumulate
; %bb.0:
	s_clause 0x1
	s_load_b32 s2, s[0:1], 0x24
	s_load_b32 s3, s[0:1], 0x10
	s_waitcnt lgkmcnt(0)
	s_and_b32 s2, s2, 0xffff
	s_delay_alu instid0(SALU_CYCLE_1) | instskip(SKIP_1) | instid1(VALU_DEP_1)
	v_mad_u64_u32 v[1:2], null, s15, s2, v[0:1]
	s_mov_b32 s2, exec_lo
	v_cmpx_gt_u32_e64 s3, v1
	s_cbranch_execz .LBB6_2
; %bb.1:
	s_load_b128 s[4:7], s[0:1], 0x0
	v_mov_b32_e32 v2, 0
	s_load_b32 s0, s[0:1], 0x14
	s_delay_alu instid0(VALU_DEP_1) | instskip(SKIP_1) | instid1(VALU_DEP_1)
	v_lshlrev_b64 v[0:1], 2, v[1:2]
	s_waitcnt lgkmcnt(0)
	v_add_co_u32 v2, vcc_lo, s6, v0
	s_delay_alu instid0(VALU_DEP_2)
	v_add_co_ci_u32_e32 v3, vcc_lo, s7, v1, vcc_lo
	v_add_co_u32 v0, vcc_lo, s4, v0
	v_add_co_ci_u32_e32 v1, vcc_lo, s5, v1, vcc_lo
	global_load_b32 v2, v[2:3], off
	global_load_b32 v3, v[0:1], off
	s_waitcnt vmcnt(0)
	v_fmac_f32_e32 v3, s0, v2
	global_store_b32 v[0:1], v3, off
.LBB6_2:
	s_nop 0
	s_sendmsg sendmsg(MSG_DEALLOC_VGPRS)
	s_endpgm
	.section	.rodata,"a",@progbits
	.p2align	6, 0x0
	.amdhsa_kernel scale_accumulate
		.amdhsa_group_segment_fixed_size 0
		.amdhsa_private_segment_fixed_size 0
		.amdhsa_kernarg_size 280
		.amdhsa_user_sgpr_count 15
		.amdhsa_user_sgpr_dispatch_ptr 0
		.amdhsa_user_sgpr_queue_ptr 0
		.amdhsa_user_sgpr_kernarg_segment_ptr 1
		.amdhsa_user_sgpr_dispatch_id 0
		.amdhsa_user_sgpr_private_segment_size 0
		.amdhsa_wavefront_size32 1
		.amdhsa_uses_dynamic_stack 0
		.amdhsa_enable_private_segment 0
		.amdhsa_system_sgpr_workgroup_id_x 1
		.amdhsa_system_sgpr_workgroup_id_y 0
		.amdhsa_system_sgpr_workgroup_id_z 0
		.amdhsa_system_sgpr_workgroup_info 0
		.amdhsa_system_vgpr_workitem_id 0
		.amdhsa_next_free_vgpr 4
		.amdhsa_next_free_sgpr 16
		.amdhsa_reserve_vcc 1
		.amdhsa_float_round_mode_32 0
		.amdhsa_float_round_mode_16_64 0
		.amdhsa_float_denorm_mode_32 3
		.amdhsa_float_denorm_mode_16_64 3
		.amdhsa_dx10_clamp 1
		.amdhsa_ieee_mode 1
		.amdhsa_fp16_overflow 0
		.amdhsa_workgroup_processor_mode 1
		.amdhsa_memory_ordered 1
		.amdhsa_forward_progress 0
		.amdhsa_shared_vgpr_count 0
		.amdhsa_exception_fp_ieee_invalid_op 0
		.amdhsa_exception_fp_denorm_src 0
		.amdhsa_exception_fp_ieee_div_zero 0
		.amdhsa_exception_fp_ieee_overflow 0
		.amdhsa_exception_fp_ieee_underflow 0
		.amdhsa_exception_fp_ieee_inexact 0
		.amdhsa_exception_int_div_zero 0
	.end_amdhsa_kernel
	.text
.Lfunc_end6:
	.size	scale_accumulate, .Lfunc_end6-scale_accumulate
                                        ; -- End function
	.section	.AMDGPU.csdata,"",@progbits
; Kernel info:
; codeLenInByte = 168
; NumSgprs: 18
; NumVgprs: 4
; ScratchSize: 0
; MemoryBound: 0
; FloatMode: 240
; IeeeMode: 1
; LDSByteSize: 0 bytes/workgroup (compile time only)
; SGPRBlocks: 2
; VGPRBlocks: 0
; NumSGPRsForWavesPerEU: 18
; NumVGPRsForWavesPerEU: 4
; Occupancy: 16
; WaveLimiterHint : 0
; COMPUTE_PGM_RSRC2:SCRATCH_EN: 0
; COMPUTE_PGM_RSRC2:USER_SGPR: 15
; COMPUTE_PGM_RSRC2:TRAP_HANDLER: 0
; COMPUTE_PGM_RSRC2:TGID_X_EN: 1
; COMPUTE_PGM_RSRC2:TGID_Y_EN: 0
; COMPUTE_PGM_RSRC2:TGID_Z_EN: 0
; COMPUTE_PGM_RSRC2:TIDIG_COMP_CNT: 0
	.text
	.protected	sigmoid_scale_acc       ; -- Begin function sigmoid_scale_acc
	.globl	sigmoid_scale_acc
	.p2align	8
	.type	sigmoid_scale_acc,@function
sigmoid_scale_acc:                      ; @sigmoid_scale_acc
; %bb.0:
	s_clause 0x1
	s_load_b32 s2, s[0:1], 0x2c
	s_load_b32 s3, s[0:1], 0x18
	s_waitcnt lgkmcnt(0)
	s_and_b32 s2, s2, 0xffff
	s_delay_alu instid0(SALU_CYCLE_1) | instskip(SKIP_1) | instid1(VALU_DEP_1)
	v_mad_u64_u32 v[1:2], null, s15, s2, v[0:1]
	s_mov_b32 s2, exec_lo
	v_cmpx_gt_u32_e64 s3, v1
	s_cbranch_execz .LBB7_2
; %bb.1:
	s_load_b128 s[4:7], s[0:1], 0x0
	v_mov_b32_e32 v2, 0
	s_load_b64 s[0:1], s[0:1], 0x10
	s_delay_alu instid0(VALU_DEP_1) | instskip(SKIP_1) | instid1(VALU_DEP_1)
	v_lshlrev_b64 v[0:1], 2, v[1:2]
	s_waitcnt lgkmcnt(0)
	v_add_co_u32 v2, vcc_lo, s6, v0
	s_delay_alu instid0(VALU_DEP_2)
	v_add_co_ci_u32_e32 v3, vcc_lo, s7, v1, vcc_lo
	v_add_co_u32 v0, vcc_lo, s4, v0
	v_add_co_ci_u32_e32 v1, vcc_lo, s5, v1, vcc_lo
	global_load_b32 v2, v[2:3], off
	global_load_b32 v3, v[0:1], off
	s_load_b32 s0, s[0:1], 0x0
	s_waitcnt lgkmcnt(0)
	v_mul_f32_e64 v4, 0xbfb8aa3b, s0
	v_cmp_nlt_f32_e64 vcc_lo, 0x42ce8ed0, s0
	s_delay_alu instid0(VALU_DEP_2) | instskip(SKIP_1) | instid1(VALU_DEP_1)
	v_fma_f32 v5, 0xbfb8aa3b, s0, -v4
	v_rndne_f32_e32 v6, v4
	v_dual_fmamk_f32 v5, s0, 0xb2a5705f, v5 :: v_dual_sub_f32 v4, v4, v6
	s_delay_alu instid0(VALU_DEP_1) | instskip(SKIP_1) | instid1(VALU_DEP_2)
	v_add_f32_e32 v4, v4, v5
	v_cvt_i32_f32_e32 v5, v6
	v_exp_f32_e32 v4, v4
	s_waitcnt_depctr 0xfff
	v_ldexp_f32 v4, v4, v5
	s_delay_alu instid0(VALU_DEP_1) | instskip(SKIP_1) | instid1(VALU_DEP_2)
	v_cndmask_b32_e32 v4, 0, v4, vcc_lo
	v_cmp_ngt_f32_e64 vcc_lo, 0xc2b17218, s0
	v_cndmask_b32_e32 v4, 0x7f800000, v4, vcc_lo
	s_delay_alu instid0(VALU_DEP_1) | instskip(NEXT) | instid1(VALU_DEP_1)
	v_add_f32_e32 v4, 1.0, v4
	v_div_scale_f32 v5, null, v4, v4, 1.0
	s_delay_alu instid0(VALU_DEP_1) | instskip(SKIP_2) | instid1(VALU_DEP_1)
	v_rcp_f32_e32 v6, v5
	s_waitcnt_depctr 0xfff
	v_fma_f32 v7, -v5, v6, 1.0
	v_fmac_f32_e32 v6, v7, v6
	v_div_scale_f32 v7, vcc_lo, 1.0, v4, 1.0
	s_delay_alu instid0(VALU_DEP_1) | instskip(NEXT) | instid1(VALU_DEP_1)
	v_mul_f32_e32 v8, v7, v6
	v_fma_f32 v9, -v5, v8, v7
	s_delay_alu instid0(VALU_DEP_1) | instskip(NEXT) | instid1(VALU_DEP_1)
	v_fmac_f32_e32 v8, v9, v6
	v_fma_f32 v5, -v5, v8, v7
	s_delay_alu instid0(VALU_DEP_1) | instskip(NEXT) | instid1(VALU_DEP_1)
	v_div_fmas_f32 v5, v5, v6, v8
	v_div_fixup_f32 v4, v5, v4, 1.0
	s_waitcnt vmcnt(0)
	s_delay_alu instid0(VALU_DEP_1)
	v_fmac_f32_e32 v3, v2, v4
	global_store_b32 v[0:1], v3, off
.LBB7_2:
	s_nop 0
	s_sendmsg sendmsg(MSG_DEALLOC_VGPRS)
	s_endpgm
	.section	.rodata,"a",@progbits
	.p2align	6, 0x0
	.amdhsa_kernel sigmoid_scale_acc
		.amdhsa_group_segment_fixed_size 0
		.amdhsa_private_segment_fixed_size 0
		.amdhsa_kernarg_size 288
		.amdhsa_user_sgpr_count 15
		.amdhsa_user_sgpr_dispatch_ptr 0
		.amdhsa_user_sgpr_queue_ptr 0
		.amdhsa_user_sgpr_kernarg_segment_ptr 1
		.amdhsa_user_sgpr_dispatch_id 0
		.amdhsa_user_sgpr_private_segment_size 0
		.amdhsa_wavefront_size32 1
		.amdhsa_uses_dynamic_stack 0
		.amdhsa_enable_private_segment 0
		.amdhsa_system_sgpr_workgroup_id_x 1
		.amdhsa_system_sgpr_workgroup_id_y 0
		.amdhsa_system_sgpr_workgroup_id_z 0
		.amdhsa_system_sgpr_workgroup_info 0
		.amdhsa_system_vgpr_workitem_id 0
		.amdhsa_next_free_vgpr 10
		.amdhsa_next_free_sgpr 16
		.amdhsa_reserve_vcc 1
		.amdhsa_float_round_mode_32 0
		.amdhsa_float_round_mode_16_64 0
		.amdhsa_float_denorm_mode_32 3
		.amdhsa_float_denorm_mode_16_64 3
		.amdhsa_dx10_clamp 1
		.amdhsa_ieee_mode 1
		.amdhsa_fp16_overflow 0
		.amdhsa_workgroup_processor_mode 1
		.amdhsa_memory_ordered 1
		.amdhsa_forward_progress 0
		.amdhsa_shared_vgpr_count 0
		.amdhsa_exception_fp_ieee_invalid_op 0
		.amdhsa_exception_fp_denorm_src 0
		.amdhsa_exception_fp_ieee_div_zero 0
		.amdhsa_exception_fp_ieee_overflow 0
		.amdhsa_exception_fp_ieee_underflow 0
		.amdhsa_exception_fp_ieee_inexact 0
		.amdhsa_exception_int_div_zero 0
	.end_amdhsa_kernel
	.text
.Lfunc_end7:
	.size	sigmoid_scale_acc, .Lfunc_end7-sigmoid_scale_acc
                                        ; -- End function
	.section	.AMDGPU.csdata,"",@progbits
; Kernel info:
; codeLenInByte = 396
; NumSgprs: 18
; NumVgprs: 10
; ScratchSize: 0
; MemoryBound: 0
; FloatMode: 240
; IeeeMode: 1
; LDSByteSize: 0 bytes/workgroup (compile time only)
; SGPRBlocks: 2
; VGPRBlocks: 1
; NumSGPRsForWavesPerEU: 18
; NumVGPRsForWavesPerEU: 10
; Occupancy: 16
; WaveLimiterHint : 0
; COMPUTE_PGM_RSRC2:SCRATCH_EN: 0
; COMPUTE_PGM_RSRC2:USER_SGPR: 15
; COMPUTE_PGM_RSRC2:TRAP_HANDLER: 0
; COMPUTE_PGM_RSRC2:TGID_X_EN: 1
; COMPUTE_PGM_RSRC2:TGID_Y_EN: 0
; COMPUTE_PGM_RSRC2:TGID_Z_EN: 0
; COMPUTE_PGM_RSRC2:TIDIG_COMP_CNT: 0
	.text
	.protected	dmmv_f32                ; -- Begin function dmmv_f32
	.globl	dmmv_f32
	.p2align	8
	.type	dmmv_f32,@function
dmmv_f32:                               ; @dmmv_f32
; %bb.0:
	s_load_b64 s[10:11], s[0:1], 0x18
	s_add_u32 s2, s0, 24
	s_addc_u32 s3, s1, 0
	s_waitcnt lgkmcnt(0)
	s_cmp_ge_u32 s15, s10
	s_cbranch_scc1 .LBB8_15
; %bb.1:
	s_clause 0x2
	s_load_b64 s[8:9], s[0:1], 0x10
	s_load_b128 s[4:7], s[0:1], 0x0
	s_load_b64 s[2:3], s[2:3], 0x10
	v_mov_b32_e32 v3, 0
	s_mov_b32 s10, exec_lo
	v_cmpx_gt_u32_e64 s11, v0
	s_cbranch_execz .LBB8_5
; %bb.2:
	s_clause 0x1
	s_load_b64 s[16:17], s[0:1], 0x20
	s_load_b32 s13, s[0:1], 0x3c
	s_mul_hi_u32 s19, s11, s15
	s_mul_i32 s18, s11, s15
	v_dual_mov_b32 v2, 0 :: v_dual_mov_b32 v1, v0
	s_mov_b32 s12, 0
	s_delay_alu instid0(VALU_DEP_1) | instskip(SKIP_2) | instid1(SALU_CYCLE_1)
	v_mov_b32_e32 v3, v2
	s_waitcnt lgkmcnt(0)
	s_and_b32 s14, s16, -4
	s_add_u32 s14, s4, s14
	s_addc_u32 s16, s5, 0
	s_lshl_b64 s[4:5], s[18:19], 2
	s_delay_alu instid0(SALU_CYCLE_1) | instskip(SKIP_2) | instid1(SALU_CYCLE_1)
	s_add_u32 s4, s14, s4
	s_addc_u32 s5, s16, s5
	s_and_b32 s14, s17, -4
	s_add_u32 s6, s6, s14
	s_addc_u32 s7, s7, 0
	s_and_b32 s13, s13, 0xffff
	.p2align	6
.LBB8_3:                                ; =>This Inner Loop Header: Depth=1
	v_lshlrev_b64 v[4:5], 2, v[1:2]
	v_add_nc_u32_e32 v1, s13, v1
	s_delay_alu instid0(VALU_DEP_2) | instskip(NEXT) | instid1(VALU_DEP_3)
	v_add_co_u32 v6, vcc_lo, s4, v4
	v_add_co_ci_u32_e32 v7, vcc_lo, s5, v5, vcc_lo
	v_add_co_u32 v4, vcc_lo, s6, v4
	v_add_co_ci_u32_e32 v5, vcc_lo, s7, v5, vcc_lo
	v_cmp_le_u32_e32 vcc_lo, s11, v1
	global_load_b32 v6, v[6:7], off
	global_load_b32 v4, v[4:5], off
	s_or_b32 s12, vcc_lo, s12
	s_waitcnt vmcnt(0)
	v_fmac_f32_e32 v3, v6, v4
	s_and_not1_b32 exec_lo, exec_lo, s12
	s_cbranch_execnz .LBB8_3
; %bb.4:
	s_or_b32 exec_lo, exec_lo, s12
.LBB8_5:
	s_delay_alu instid0(SALU_CYCLE_1) | instskip(SKIP_3) | instid1(VALU_DEP_1)
	s_or_b32 exec_lo, exec_lo, s10
	v_mbcnt_lo_u32_b32 v4, -1, 0
	s_waitcnt lgkmcnt(0)
	s_mov_b32 s4, exec_lo
	v_cmp_gt_u32_e32 vcc_lo, 16, v4
	v_cndmask_b32_e64 v1, 0, 1, vcc_lo
	v_cmp_gt_u32_e32 vcc_lo, 24, v4
	s_delay_alu instid0(VALU_DEP_2) | instskip(SKIP_2) | instid1(VALU_DEP_3)
	v_lshlrev_b32_e32 v1, 4, v1
	v_cndmask_b32_e64 v2, 0, 1, vcc_lo
	v_cmp_gt_u32_e32 vcc_lo, 28, v4
	v_add_lshl_u32 v1, v1, v4, 2
	ds_bpermute_b32 v5, v1, v3
	s_waitcnt lgkmcnt(0)
	v_dual_add_f32 v5, v3, v5 :: v_dual_lshlrev_b32 v2, 3, v2
	s_delay_alu instid0(VALU_DEP_1) | instskip(SKIP_4) | instid1(VALU_DEP_1)
	v_add_lshl_u32 v2, v2, v4, 2
	v_cndmask_b32_e64 v3, 0, 1, vcc_lo
	v_cmp_gt_u32_e32 vcc_lo, 30, v4
	ds_bpermute_b32 v6, v2, v5
	v_lshlrev_b32_e32 v3, 2, v3
	v_add_lshl_u32 v3, v3, v4, 2
	s_waitcnt lgkmcnt(0)
	v_add_f32_e32 v6, v5, v6
	v_cndmask_b32_e64 v5, 0, 1, vcc_lo
	v_cmp_ne_u32_e32 vcc_lo, 31, v4
	ds_bpermute_b32 v7, v3, v6
	v_lshlrev_b32_e32 v5, 1, v5
	v_add_co_ci_u32_e32 v8, vcc_lo, 0, v4, vcc_lo
	s_waitcnt lgkmcnt(0)
	v_add_f32_e32 v6, v6, v7
	s_delay_alu instid0(VALU_DEP_3)
	v_add_lshl_u32 v5, v5, v4, 2
	ds_bpermute_b32 v7, v5, v6
	s_waitcnt lgkmcnt(0)
	v_dual_add_f32 v4, v6, v7 :: v_dual_and_b32 v7, 31, v0
	v_lshlrev_b32_e32 v6, 2, v8
	ds_bpermute_b32 v8, v6, v4
	v_cmpx_eq_u32_e32 0, v7
	s_cbranch_execz .LBB8_7
; %bb.6:
	s_waitcnt lgkmcnt(0)
	v_add_f32_e32 v4, v4, v8
	v_lshrrev_b32_e32 v8, 3, v0
	ds_store_b32 v8, v4
.LBB8_7:
	s_or_b32 exec_lo, exec_lo, s4
	s_waitcnt lgkmcnt(0)
	s_barrier
	buffer_gl0_inv
	s_load_b32 s0, s[0:1], 0x3c
	v_mov_b32_e32 v4, 0
	s_waitcnt lgkmcnt(0)
	s_and_b32 s0, s0, 0xffff
	s_delay_alu instid0(SALU_CYCLE_1) | instskip(NEXT) | instid1(SALU_CYCLE_1)
	s_add_i32 s0, s0, 31
	s_lshr_b32 s0, s0, 5
	s_delay_alu instid0(SALU_CYCLE_1)
	v_cmp_gt_u32_e32 vcc_lo, s0, v0
	s_and_saveexec_b32 s0, vcc_lo
	s_cbranch_execz .LBB8_9
; %bb.8:
	v_lshlrev_b32_e32 v4, 2, v7
	ds_load_b32 v4, v4
.LBB8_9:
	s_or_b32 exec_lo, exec_lo, s0
	s_delay_alu instid0(SALU_CYCLE_1)
	s_mov_b32 s0, exec_lo
	v_cmpx_gt_u32_e32 32, v0
	s_cbranch_execz .LBB8_11
; %bb.10:
	s_waitcnt lgkmcnt(0)
	ds_bpermute_b32 v1, v1, v4
	s_waitcnt lgkmcnt(0)
	v_add_f32_e32 v1, v4, v1
	ds_bpermute_b32 v2, v2, v1
	s_waitcnt lgkmcnt(0)
	v_add_f32_e32 v1, v1, v2
	;; [unrolled: 3-line block ×5, first 2 shown]
.LBB8_11:
	s_or_b32 exec_lo, exec_lo, s0
	s_mov_b32 s1, 0
	s_mov_b32 s0, exec_lo
	v_cmpx_eq_u32_e32 0, v0
	s_cbranch_execz .LBB8_15
; %bb.12:
	s_lshr_b32 s0, s2, 2
	s_delay_alu instid0(SALU_CYCLE_1) | instskip(NEXT) | instid1(SALU_CYCLE_1)
	s_add_i32 s0, s0, s15
	s_lshl_b64 s[0:1], s[0:1], 2
	s_delay_alu instid0(SALU_CYCLE_1)
	s_add_u32 s0, s8, s0
	s_addc_u32 s1, s9, s1
	s_cmp_eq_u32 s3, 0
	s_cbranch_scc1 .LBB8_14
; %bb.13:
	s_load_b32 s2, s[0:1], 0x0
	s_waitcnt lgkmcnt(0)
	v_add_f32_e32 v4, s2, v4
.LBB8_14:
	v_mov_b32_e32 v0, 0
	s_waitcnt lgkmcnt(0)
	global_store_b32 v0, v4, s[0:1]
.LBB8_15:
	s_nop 0
	s_sendmsg sendmsg(MSG_DEALLOC_VGPRS)
	s_endpgm
	.section	.rodata,"a",@progbits
	.p2align	6, 0x0
	.amdhsa_kernel dmmv_f32
		.amdhsa_group_segment_fixed_size 128
		.amdhsa_private_segment_fixed_size 0
		.amdhsa_kernarg_size 304
		.amdhsa_user_sgpr_count 15
		.amdhsa_user_sgpr_dispatch_ptr 0
		.amdhsa_user_sgpr_queue_ptr 0
		.amdhsa_user_sgpr_kernarg_segment_ptr 1
		.amdhsa_user_sgpr_dispatch_id 0
		.amdhsa_user_sgpr_private_segment_size 0
		.amdhsa_wavefront_size32 1
		.amdhsa_uses_dynamic_stack 0
		.amdhsa_enable_private_segment 0
		.amdhsa_system_sgpr_workgroup_id_x 1
		.amdhsa_system_sgpr_workgroup_id_y 0
		.amdhsa_system_sgpr_workgroup_id_z 0
		.amdhsa_system_sgpr_workgroup_info 0
		.amdhsa_system_vgpr_workitem_id 0
		.amdhsa_next_free_vgpr 9
		.amdhsa_next_free_sgpr 20
		.amdhsa_reserve_vcc 1
		.amdhsa_float_round_mode_32 0
		.amdhsa_float_round_mode_16_64 0
		.amdhsa_float_denorm_mode_32 3
		.amdhsa_float_denorm_mode_16_64 3
		.amdhsa_dx10_clamp 1
		.amdhsa_ieee_mode 1
		.amdhsa_fp16_overflow 0
		.amdhsa_workgroup_processor_mode 1
		.amdhsa_memory_ordered 1
		.amdhsa_forward_progress 0
		.amdhsa_shared_vgpr_count 0
		.amdhsa_exception_fp_ieee_invalid_op 0
		.amdhsa_exception_fp_denorm_src 0
		.amdhsa_exception_fp_ieee_div_zero 0
		.amdhsa_exception_fp_ieee_overflow 0
		.amdhsa_exception_fp_ieee_underflow 0
		.amdhsa_exception_fp_ieee_inexact 0
		.amdhsa_exception_int_div_zero 0
	.end_amdhsa_kernel
	.text
.Lfunc_end8:
	.size	dmmv_f32, .Lfunc_end8-dmmv_f32
                                        ; -- End function
	.section	.AMDGPU.csdata,"",@progbits
; Kernel info:
; codeLenInByte = 796
; NumSgprs: 22
; NumVgprs: 9
; ScratchSize: 0
; MemoryBound: 0
; FloatMode: 240
; IeeeMode: 1
; LDSByteSize: 128 bytes/workgroup (compile time only)
; SGPRBlocks: 2
; VGPRBlocks: 1
; NumSGPRsForWavesPerEU: 22
; NumVGPRsForWavesPerEU: 9
; Occupancy: 16
; WaveLimiterHint : 0
; COMPUTE_PGM_RSRC2:SCRATCH_EN: 0
; COMPUTE_PGM_RSRC2:USER_SGPR: 15
; COMPUTE_PGM_RSRC2:TRAP_HANDLER: 0
; COMPUTE_PGM_RSRC2:TGID_X_EN: 1
; COMPUTE_PGM_RSRC2:TGID_Y_EN: 0
; COMPUTE_PGM_RSRC2:TGID_Z_EN: 0
; COMPUTE_PGM_RSRC2:TIDIG_COMP_CNT: 0
	.text
	.protected	dmmv_q8_0               ; -- Begin function dmmv_q8_0
	.globl	dmmv_q8_0
	.p2align	8
	.type	dmmv_q8_0,@function
dmmv_q8_0:                              ; @dmmv_q8_0
; %bb.0:
	s_load_b64 s[10:11], s[0:1], 0x18
	s_add_u32 s2, s0, 24
	s_addc_u32 s3, s1, 0
	s_waitcnt lgkmcnt(0)
	s_cmp_ge_u32 s15, s10
	s_cbranch_scc1 .LBB9_25
; %bb.1:
	s_clause 0x2
	s_load_b64 s[8:9], s[0:1], 0x10
	s_load_b128 s[4:7], s[0:1], 0x0
	s_load_b64 s[2:3], s[2:3], 0x10
	v_mov_b32_e32 v5, 0
	s_mov_b32 s10, exec_lo
	v_cmpx_gt_u32_e64 s11, v0
	s_cbranch_execz .LBB9_15
; %bb.2:
	s_clause 0x1
	s_load_b64 s[16:17], s[0:1], 0x20
	s_load_b32 s13, s[0:1], 0x3c
	s_lshr_b32 s14, s11, 5
	v_dual_mov_b32 v2, 0 :: v_dual_mov_b32 v5, 0
	s_mul_hi_u32 s18, s15, s14
	s_mul_i32 s14, s15, s14
	s_mul_i32 s18, s18, 34
	s_mul_hi_u32 s19, s14, 34
	s_mul_i32 s14, s14, 34
	v_mov_b32_e32 v1, v0
	s_mov_b32 s12, 0
	s_waitcnt lgkmcnt(0)
	s_add_u32 s4, s4, s16
	s_addc_u32 s5, s5, 0
	s_add_i32 s19, s19, s18
	s_add_u32 s4, s4, s14
	s_addc_u32 s5, s5, s19
	s_and_b32 s14, s17, -4
	s_delay_alu instid0(SALU_CYCLE_1)
	s_add_u32 s6, s6, s14
	s_addc_u32 s7, s7, 0
	s_and_b32 s13, s13, 0xffff
	s_branch .LBB9_6
.LBB9_3:                                ;   in Loop: Header=BB9_6 Depth=1
	s_and_not1_saveexec_b32 s17, s17
	s_delay_alu instid0(SALU_CYCLE_1)
	s_or_b32 exec_lo, exec_lo, s17
.LBB9_4:                                ;   in Loop: Header=BB9_6 Depth=1
	s_delay_alu instid0(SALU_CYCLE_1)
	s_or_b32 exec_lo, exec_lo, s16
.LBB9_5:                                ;   in Loop: Header=BB9_6 Depth=1
	s_delay_alu instid0(SALU_CYCLE_1) | instskip(SKIP_1) | instid1(VALU_DEP_1)
	s_or_b32 exec_lo, exec_lo, s14
	v_and_b32_e32 v7, 31, v1
	v_add_co_u32 v3, vcc_lo, v3, v7
	v_add_co_ci_u32_e32 v4, vcc_lo, 0, v4, vcc_lo
	v_lshlrev_b64 v[7:8], 2, v[1:2]
	v_add_nc_u32_e32 v1, s13, v1
	global_load_i8 v9, v[3:4], off offset:2
	v_add_co_u32 v3, vcc_lo, s6, v7
	v_add_co_ci_u32_e32 v4, vcc_lo, s7, v8, vcc_lo
	v_cmp_le_u32_e32 vcc_lo, s11, v1
	global_load_b32 v3, v[3:4], off
	s_or_b32 s12, vcc_lo, s12
	s_waitcnt vmcnt(1)
	v_cvt_f32_i32_e32 v4, v9
	s_delay_alu instid0(VALU_DEP_1) | instskip(SKIP_1) | instid1(VALU_DEP_1)
	v_mul_f32_e32 v4, v6, v4
	s_waitcnt vmcnt(0)
	v_fmac_f32_e32 v5, v3, v4
	s_and_not1_b32 exec_lo, exec_lo, s12
	s_cbranch_execz .LBB9_14
.LBB9_6:                                ; =>This Inner Loop Header: Depth=1
	v_lshrrev_b32_e32 v6, 5, v1
	s_mov_b32 s14, exec_lo
	s_delay_alu instid0(VALU_DEP_1) | instskip(SKIP_3) | instid1(VALU_DEP_1)
	v_mad_u64_u32 v[3:4], null, v6, 34, s[4:5]
	global_load_u16 v6, v[3:4], off
	s_waitcnt vmcnt(0)
	v_lshrrev_b16 v7, 8, v6
	v_and_b32_e32 v7, 0xffff, v7
	s_delay_alu instid0(VALU_DEP_1) | instskip(SKIP_2) | instid1(VALU_DEP_3)
	v_lshrrev_b32_e32 v8, 7, v7
	v_bfe_u32 v9, v7, 2, 5
	v_perm_b32 v7, v7, v6, 0x6050400
	v_lshlrev_b32_e32 v6, 31, v8
	s_delay_alu instid0(VALU_DEP_3)
	v_cmpx_lt_i32_e32 30, v9
	s_xor_b32 s14, exec_lo, s14
; %bb.7:                                ;   in Loop: Header=BB9_6 Depth=1
	v_lshlrev_b32_e32 v6, 31, v8
	v_lshlrev_b32_e32 v7, 13, v7
                                        ; implicit-def: $vgpr9
                                        ; implicit-def: $vgpr8
	s_delay_alu instid0(VALU_DEP_1)
	v_or3_b32 v6, v7, v6, 0x7f800000
                                        ; implicit-def: $vgpr7
; %bb.8:                                ;   in Loop: Header=BB9_6 Depth=1
	s_and_not1_saveexec_b32 s14, s14
	s_cbranch_execz .LBB9_5
; %bb.9:                                ;   in Loop: Header=BB9_6 Depth=1
	v_and_b32_e32 v10, 0x3ff, v7
	s_mov_b32 s16, exec_lo
	v_cmpx_ne_u32_e32 0, v9
	s_xor_b32 s16, exec_lo, s16
; %bb.10:                               ;   in Loop: Header=BB9_6 Depth=1
	v_lshlrev_b32_e32 v6, 31, v8
	v_lshlrev_b32_e32 v7, 23, v9
	;; [unrolled: 1-line block ×3, first 2 shown]
                                        ; implicit-def: $vgpr10
	s_delay_alu instid0(VALU_DEP_1) | instskip(NEXT) | instid1(VALU_DEP_1)
	v_or3_b32 v6, v7, v6, v8
                                        ; implicit-def: $vgpr7
                                        ; implicit-def: $vgpr8
	v_add_nc_u32_e32 v6, 0x38000000, v6
; %bb.11:                               ;   in Loop: Header=BB9_6 Depth=1
	s_and_not1_saveexec_b32 s16, s16
	s_cbranch_execz .LBB9_4
; %bb.12:                               ;   in Loop: Header=BB9_6 Depth=1
	s_mov_b32 s17, exec_lo
	v_cmpx_ne_u32_e32 0, v10
	s_xor_b32 s17, exec_lo, s17
	s_cbranch_execz .LBB9_3
; %bb.13:                               ;   in Loop: Header=BB9_6 Depth=1
	v_clz_i32_u32_e32 v6, v10
	v_lshlrev_b32_e32 v8, 31, v8
	s_delay_alu instid0(VALU_DEP_2) | instskip(SKIP_1) | instid1(VALU_DEP_2)
	v_xor_b32_e32 v9, 31, v6
	v_lshlrev_b32_e32 v6, 23, v6
	v_sub_nc_u32_e32 v9, 9, v9
	s_delay_alu instid0(VALU_DEP_1) | instskip(NEXT) | instid1(VALU_DEP_1)
	v_lshlrev_b32_e32 v7, v9, v7
	v_lshlrev_b32_e32 v7, 14, v7
	s_delay_alu instid0(VALU_DEP_1) | instskip(NEXT) | instid1(VALU_DEP_1)
	v_and_or_b32 v7, 0x7fc000, v7, v8
	v_sub_nc_u32_e32 v6, v7, v6
	s_delay_alu instid0(VALU_DEP_1)
	v_add_nc_u32_e32 v6, 0x43000000, v6
	s_branch .LBB9_3
.LBB9_14:
	s_or_b32 exec_lo, exec_lo, s12
.LBB9_15:
	s_delay_alu instid0(SALU_CYCLE_1) | instskip(SKIP_3) | instid1(VALU_DEP_1)
	s_or_b32 exec_lo, exec_lo, s10
	v_mbcnt_lo_u32_b32 v4, -1, 0
	s_waitcnt lgkmcnt(0)
	s_mov_b32 s4, exec_lo
	v_cmp_gt_u32_e32 vcc_lo, 16, v4
	v_cndmask_b32_e64 v1, 0, 1, vcc_lo
	v_cmp_gt_u32_e32 vcc_lo, 24, v4
	s_delay_alu instid0(VALU_DEP_2) | instskip(SKIP_2) | instid1(VALU_DEP_3)
	v_lshlrev_b32_e32 v1, 4, v1
	v_cndmask_b32_e64 v2, 0, 1, vcc_lo
	v_cmp_gt_u32_e32 vcc_lo, 28, v4
	v_add_lshl_u32 v1, v1, v4, 2
	ds_bpermute_b32 v3, v1, v5
	s_waitcnt lgkmcnt(0)
	v_dual_add_f32 v5, v5, v3 :: v_dual_lshlrev_b32 v2, 3, v2
	s_delay_alu instid0(VALU_DEP_1) | instskip(SKIP_4) | instid1(VALU_DEP_1)
	v_add_lshl_u32 v2, v2, v4, 2
	v_cndmask_b32_e64 v3, 0, 1, vcc_lo
	v_cmp_gt_u32_e32 vcc_lo, 30, v4
	ds_bpermute_b32 v6, v2, v5
	v_lshlrev_b32_e32 v3, 2, v3
	v_add_lshl_u32 v3, v3, v4, 2
	s_waitcnt lgkmcnt(0)
	v_add_f32_e32 v6, v5, v6
	v_cndmask_b32_e64 v5, 0, 1, vcc_lo
	v_cmp_ne_u32_e32 vcc_lo, 31, v4
	ds_bpermute_b32 v7, v3, v6
	v_lshlrev_b32_e32 v5, 1, v5
	v_add_co_ci_u32_e32 v8, vcc_lo, 0, v4, vcc_lo
	s_waitcnt lgkmcnt(0)
	v_add_f32_e32 v6, v6, v7
	s_delay_alu instid0(VALU_DEP_3)
	v_add_lshl_u32 v5, v5, v4, 2
	ds_bpermute_b32 v7, v5, v6
	s_waitcnt lgkmcnt(0)
	v_dual_add_f32 v4, v6, v7 :: v_dual_and_b32 v7, 31, v0
	v_lshlrev_b32_e32 v6, 2, v8
	ds_bpermute_b32 v8, v6, v4
	v_cmpx_eq_u32_e32 0, v7
	s_cbranch_execz .LBB9_17
; %bb.16:
	s_waitcnt lgkmcnt(0)
	v_add_f32_e32 v4, v4, v8
	v_lshrrev_b32_e32 v8, 3, v0
	ds_store_b32 v8, v4
.LBB9_17:
	s_or_b32 exec_lo, exec_lo, s4
	s_waitcnt lgkmcnt(0)
	s_barrier
	buffer_gl0_inv
	s_load_b32 s0, s[0:1], 0x3c
	v_mov_b32_e32 v4, 0
	s_waitcnt lgkmcnt(0)
	s_and_b32 s0, s0, 0xffff
	s_delay_alu instid0(SALU_CYCLE_1) | instskip(NEXT) | instid1(SALU_CYCLE_1)
	s_add_i32 s0, s0, 31
	s_lshr_b32 s0, s0, 5
	s_delay_alu instid0(SALU_CYCLE_1)
	v_cmp_gt_u32_e32 vcc_lo, s0, v0
	s_and_saveexec_b32 s0, vcc_lo
	s_cbranch_execz .LBB9_19
; %bb.18:
	v_lshlrev_b32_e32 v4, 2, v7
	ds_load_b32 v4, v4
.LBB9_19:
	s_or_b32 exec_lo, exec_lo, s0
	s_delay_alu instid0(SALU_CYCLE_1)
	s_mov_b32 s0, exec_lo
	v_cmpx_gt_u32_e32 32, v0
	s_cbranch_execz .LBB9_21
; %bb.20:
	s_waitcnt lgkmcnt(0)
	ds_bpermute_b32 v1, v1, v4
	s_waitcnt lgkmcnt(0)
	v_add_f32_e32 v1, v4, v1
	ds_bpermute_b32 v2, v2, v1
	s_waitcnt lgkmcnt(0)
	v_add_f32_e32 v1, v1, v2
	;; [unrolled: 3-line block ×5, first 2 shown]
.LBB9_21:
	s_or_b32 exec_lo, exec_lo, s0
	s_mov_b32 s1, 0
	s_mov_b32 s0, exec_lo
	v_cmpx_eq_u32_e32 0, v0
	s_cbranch_execz .LBB9_25
; %bb.22:
	s_lshr_b32 s0, s2, 2
	s_delay_alu instid0(SALU_CYCLE_1) | instskip(NEXT) | instid1(SALU_CYCLE_1)
	s_add_i32 s0, s0, s15
	s_lshl_b64 s[0:1], s[0:1], 2
	s_delay_alu instid0(SALU_CYCLE_1)
	s_add_u32 s0, s8, s0
	s_addc_u32 s1, s9, s1
	s_cmp_eq_u32 s3, 0
	s_cbranch_scc1 .LBB9_24
; %bb.23:
	s_load_b32 s2, s[0:1], 0x0
	s_waitcnt lgkmcnt(0)
	v_add_f32_e32 v4, s2, v4
.LBB9_24:
	v_mov_b32_e32 v0, 0
	s_waitcnt lgkmcnt(0)
	global_store_b32 v0, v4, s[0:1]
.LBB9_25:
	s_nop 0
	s_sendmsg sendmsg(MSG_DEALLOC_VGPRS)
	s_endpgm
	.section	.rodata,"a",@progbits
	.p2align	6, 0x0
	.amdhsa_kernel dmmv_q8_0
		.amdhsa_group_segment_fixed_size 128
		.amdhsa_private_segment_fixed_size 0
		.amdhsa_kernarg_size 304
		.amdhsa_user_sgpr_count 15
		.amdhsa_user_sgpr_dispatch_ptr 0
		.amdhsa_user_sgpr_queue_ptr 0
		.amdhsa_user_sgpr_kernarg_segment_ptr 1
		.amdhsa_user_sgpr_dispatch_id 0
		.amdhsa_user_sgpr_private_segment_size 0
		.amdhsa_wavefront_size32 1
		.amdhsa_uses_dynamic_stack 0
		.amdhsa_enable_private_segment 0
		.amdhsa_system_sgpr_workgroup_id_x 1
		.amdhsa_system_sgpr_workgroup_id_y 0
		.amdhsa_system_sgpr_workgroup_id_z 0
		.amdhsa_system_sgpr_workgroup_info 0
		.amdhsa_system_vgpr_workitem_id 0
		.amdhsa_next_free_vgpr 11
		.amdhsa_next_free_sgpr 20
		.amdhsa_reserve_vcc 1
		.amdhsa_float_round_mode_32 0
		.amdhsa_float_round_mode_16_64 0
		.amdhsa_float_denorm_mode_32 3
		.amdhsa_float_denorm_mode_16_64 3
		.amdhsa_dx10_clamp 1
		.amdhsa_ieee_mode 1
		.amdhsa_fp16_overflow 0
		.amdhsa_workgroup_processor_mode 1
		.amdhsa_memory_ordered 1
		.amdhsa_forward_progress 0
		.amdhsa_shared_vgpr_count 0
		.amdhsa_exception_fp_ieee_invalid_op 0
		.amdhsa_exception_fp_denorm_src 0
		.amdhsa_exception_fp_ieee_div_zero 0
		.amdhsa_exception_fp_ieee_overflow 0
		.amdhsa_exception_fp_ieee_underflow 0
		.amdhsa_exception_fp_ieee_inexact 0
		.amdhsa_exception_int_div_zero 0
	.end_amdhsa_kernel
	.text
.Lfunc_end9:
	.size	dmmv_q8_0, .Lfunc_end9-dmmv_q8_0
                                        ; -- End function
	.section	.AMDGPU.csdata,"",@progbits
; Kernel info:
; codeLenInByte = 1124
; NumSgprs: 22
; NumVgprs: 11
; ScratchSize: 0
; MemoryBound: 0
; FloatMode: 240
; IeeeMode: 1
; LDSByteSize: 128 bytes/workgroup (compile time only)
; SGPRBlocks: 2
; VGPRBlocks: 1
; NumSGPRsForWavesPerEU: 22
; NumVGPRsForWavesPerEU: 11
; Occupancy: 16
; WaveLimiterHint : 0
; COMPUTE_PGM_RSRC2:SCRATCH_EN: 0
; COMPUTE_PGM_RSRC2:USER_SGPR: 15
; COMPUTE_PGM_RSRC2:TRAP_HANDLER: 0
; COMPUTE_PGM_RSRC2:TGID_X_EN: 1
; COMPUTE_PGM_RSRC2:TGID_Y_EN: 0
; COMPUTE_PGM_RSRC2:TGID_Z_EN: 0
; COMPUTE_PGM_RSRC2:TIDIG_COMP_CNT: 0
	.text
	.protected	dmmv_q5_1               ; -- Begin function dmmv_q5_1
	.globl	dmmv_q5_1
	.p2align	8
	.type	dmmv_q5_1,@function
dmmv_q5_1:                              ; @dmmv_q5_1
; %bb.0:
	s_load_b64 s[2:3], s[0:1], 0x18
	s_add_u32 s8, s0, 24
	s_addc_u32 s9, s1, 0
	s_waitcnt lgkmcnt(0)
	s_cmp_ge_u32 s15, s2
	s_cbranch_scc1 .LBB10_39
; %bb.1:
	s_clause 0x2
	s_load_b64 s[10:11], s[0:1], 0x10
	s_load_b128 s[4:7], s[0:1], 0x0
	s_load_b64 s[8:9], s[8:9], 0x10
	v_mov_b32_e32 v5, 0
	s_mov_b32 s12, exec_lo
	v_cmpx_gt_u32_e64 s3, v0
	s_cbranch_execz .LBB10_29
; %bb.2:
	s_clause 0x1
	s_load_b64 s[16:17], s[0:1], 0x20
	s_load_b32 s2, s[0:1], 0x3c
	s_lshr_b32 s14, s3, 5
	v_dual_mov_b32 v2, 0 :: v_dual_mov_b32 v5, 0
	s_mul_hi_u32 s18, s15, s14
	s_mul_i32 s14, s15, s14
	s_mul_i32 s18, s18, 24
	s_mul_hi_u32 s19, s14, 24
	s_mul_i32 s14, s14, 24
	v_mov_b32_e32 v1, v0
	s_mov_b32 s13, 0
	s_waitcnt lgkmcnt(0)
	s_add_u32 s4, s4, s16
	s_addc_u32 s5, s5, 0
	s_add_i32 s19, s19, s18
	s_add_u32 s4, s4, s14
	s_addc_u32 s5, s5, s19
	s_and_b32 s14, s17, -4
	s_delay_alu instid0(SALU_CYCLE_1)
	s_add_u32 s6, s6, s14
	s_addc_u32 s7, s7, 0
	s_and_b32 s14, s2, 0xffff
	s_branch .LBB10_4
.LBB10_3:                               ;   in Loop: Header=BB10_4 Depth=1
	s_or_b32 exec_lo, exec_lo, s2
	v_lshlrev_b64 v[3:4], 2, v[1:2]
	v_add_nc_u32_e32 v1, s14, v1
	s_delay_alu instid0(VALU_DEP_2) | instskip(NEXT) | instid1(VALU_DEP_3)
	v_add_co_u32 v3, vcc_lo, s6, v3
	v_add_co_ci_u32_e32 v4, vcc_lo, s7, v4, vcc_lo
	s_delay_alu instid0(VALU_DEP_3) | instskip(SKIP_4) | instid1(VALU_DEP_1)
	v_cmp_le_u32_e32 vcc_lo, s3, v1
	global_load_b32 v3, v[3:4], off
	s_waitcnt vmcnt(1)
	v_lshrrev_b32_e32 v4, v9, v8
	s_or_b32 s13, vcc_lo, s13
	v_lshlrev_b32_e32 v4, 4, v4
	s_delay_alu instid0(VALU_DEP_1) | instskip(NEXT) | instid1(VALU_DEP_1)
	v_and_or_b32 v4, v4, 16, v10
	v_cvt_f32_ubyte0_e32 v4, v4
	s_delay_alu instid0(VALU_DEP_1) | instskip(SKIP_1) | instid1(VALU_DEP_1)
	v_fmac_f32_e32 v7, v6, v4
	s_waitcnt vmcnt(0)
	v_fmac_f32_e32 v5, v3, v7
	s_and_not1_b32 exec_lo, exec_lo, s13
	s_cbranch_execz .LBB10_28
.LBB10_4:                               ; =>This Inner Loop Header: Depth=1
	v_lshrrev_b32_e32 v3, 5, v1
	s_mov_b32 s2, exec_lo
	s_delay_alu instid0(VALU_DEP_1) | instskip(SKIP_3) | instid1(VALU_DEP_1)
	v_mul_lo_u32 v3, v3, 24
	global_load_u16 v4, v3, s[4:5]
	s_waitcnt vmcnt(0)
	v_lshrrev_b16 v6, 8, v4
	v_and_b32_e32 v6, 0xffff, v6
	s_delay_alu instid0(VALU_DEP_1) | instskip(SKIP_2) | instid1(VALU_DEP_3)
	v_lshrrev_b32_e32 v7, 7, v6
	v_bfe_u32 v8, v6, 2, 5
	v_perm_b32 v4, v6, v4, 0x6050400
	v_lshlrev_b32_e32 v6, 31, v7
	s_delay_alu instid0(VALU_DEP_3)
	v_cmpx_lt_i32_e32 30, v8
	s_xor_b32 s2, exec_lo, s2
; %bb.5:                                ;   in Loop: Header=BB10_4 Depth=1
	v_lshlrev_b32_e32 v6, 31, v7
	v_lshlrev_b32_e32 v4, 13, v4
                                        ; implicit-def: $vgpr8
                                        ; implicit-def: $vgpr7
	s_delay_alu instid0(VALU_DEP_1)
	v_or3_b32 v6, v4, v6, 0x7f800000
                                        ; implicit-def: $vgpr4
; %bb.6:                                ;   in Loop: Header=BB10_4 Depth=1
	s_and_not1_saveexec_b32 s2, s2
	s_cbranch_execz .LBB10_14
; %bb.7:                                ;   in Loop: Header=BB10_4 Depth=1
	v_and_b32_e32 v9, 0x3ff, v4
	s_mov_b32 s16, exec_lo
	v_cmpx_ne_u32_e32 0, v8
	s_xor_b32 s16, exec_lo, s16
; %bb.8:                                ;   in Loop: Header=BB10_4 Depth=1
	v_lshlrev_b32_e32 v4, 31, v7
	v_lshlrev_b32_e32 v6, 23, v8
	;; [unrolled: 1-line block ×3, first 2 shown]
                                        ; implicit-def: $vgpr9
	s_delay_alu instid0(VALU_DEP_1) | instskip(NEXT) | instid1(VALU_DEP_1)
	v_or3_b32 v4, v6, v4, v7
                                        ; implicit-def: $vgpr7
	v_add_nc_u32_e32 v6, 0x38000000, v4
                                        ; implicit-def: $vgpr4
; %bb.9:                                ;   in Loop: Header=BB10_4 Depth=1
	s_and_not1_saveexec_b32 s16, s16
	s_cbranch_execz .LBB10_13
; %bb.10:                               ;   in Loop: Header=BB10_4 Depth=1
	s_mov_b32 s17, exec_lo
	v_cmpx_ne_u32_e32 0, v9
	s_xor_b32 s17, exec_lo, s17
; %bb.11:                               ;   in Loop: Header=BB10_4 Depth=1
	v_clz_i32_u32_e32 v6, v9
	v_lshlrev_b32_e32 v7, 31, v7
	s_delay_alu instid0(VALU_DEP_2) | instskip(SKIP_1) | instid1(VALU_DEP_2)
	v_xor_b32_e32 v8, 31, v6
	v_lshlrev_b32_e32 v6, 23, v6
	v_sub_nc_u32_e32 v8, 9, v8
	s_delay_alu instid0(VALU_DEP_1) | instskip(NEXT) | instid1(VALU_DEP_1)
	v_lshlrev_b32_e32 v4, v8, v4
	v_lshlrev_b32_e32 v4, 14, v4
	s_delay_alu instid0(VALU_DEP_1) | instskip(NEXT) | instid1(VALU_DEP_1)
	v_and_or_b32 v4, 0x7fc000, v4, v7
	v_sub_nc_u32_e32 v4, v4, v6
	s_delay_alu instid0(VALU_DEP_1)
	v_add_nc_u32_e32 v6, 0x43000000, v4
; %bb.12:                               ;   in Loop: Header=BB10_4 Depth=1
	s_and_not1_saveexec_b32 s17, s17
	s_delay_alu instid0(SALU_CYCLE_1)
	s_or_b32 exec_lo, exec_lo, s17
.LBB10_13:                              ;   in Loop: Header=BB10_4 Depth=1
	s_delay_alu instid0(SALU_CYCLE_1)
	s_or_b32 exec_lo, exec_lo, s16
.LBB10_14:                              ;   in Loop: Header=BB10_4 Depth=1
	s_delay_alu instid0(SALU_CYCLE_1) | instskip(SKIP_1) | instid1(VALU_DEP_1)
	s_or_b32 exec_lo, exec_lo, s2
	v_add_co_u32 v3, s2, s4, v3
	v_add_co_ci_u32_e64 v4, null, s5, 0, s2
	s_mov_b32 s2, exec_lo
	global_load_u16 v7, v[3:4], off offset:2
	s_waitcnt vmcnt(0)
	v_lshrrev_b16 v8, 8, v7
	s_delay_alu instid0(VALU_DEP_1) | instskip(NEXT) | instid1(VALU_DEP_1)
	v_and_b32_e32 v8, 0xffff, v8
	v_lshrrev_b32_e32 v9, 7, v8
	v_bfe_u32 v10, v8, 2, 5
	v_perm_b32 v8, v8, v7, 0x6050400
	s_delay_alu instid0(VALU_DEP_3) | instskip(NEXT) | instid1(VALU_DEP_3)
	v_lshlrev_b32_e32 v7, 31, v9
	v_cmpx_lt_i32_e32 30, v10
	s_xor_b32 s2, exec_lo, s2
; %bb.15:                               ;   in Loop: Header=BB10_4 Depth=1
	v_lshlrev_b32_e32 v7, 31, v9
	v_lshlrev_b32_e32 v8, 13, v8
                                        ; implicit-def: $vgpr10
                                        ; implicit-def: $vgpr9
	s_delay_alu instid0(VALU_DEP_1)
	v_or3_b32 v7, v8, v7, 0x7f800000
                                        ; implicit-def: $vgpr8
; %bb.16:                               ;   in Loop: Header=BB10_4 Depth=1
	s_and_not1_saveexec_b32 s2, s2
	s_cbranch_execz .LBB10_24
; %bb.17:                               ;   in Loop: Header=BB10_4 Depth=1
	v_and_b32_e32 v11, 0x3ff, v8
	s_mov_b32 s16, exec_lo
	v_cmpx_ne_u32_e32 0, v10
	s_xor_b32 s16, exec_lo, s16
; %bb.18:                               ;   in Loop: Header=BB10_4 Depth=1
	v_lshlrev_b32_e32 v7, 31, v9
	v_lshlrev_b32_e32 v8, 23, v10
	;; [unrolled: 1-line block ×3, first 2 shown]
                                        ; implicit-def: $vgpr11
	s_delay_alu instid0(VALU_DEP_1) | instskip(NEXT) | instid1(VALU_DEP_1)
	v_or3_b32 v7, v8, v7, v9
                                        ; implicit-def: $vgpr8
                                        ; implicit-def: $vgpr9
	v_add_nc_u32_e32 v7, 0x38000000, v7
; %bb.19:                               ;   in Loop: Header=BB10_4 Depth=1
	s_and_not1_saveexec_b32 s16, s16
	s_cbranch_execz .LBB10_23
; %bb.20:                               ;   in Loop: Header=BB10_4 Depth=1
	s_mov_b32 s17, exec_lo
	v_cmpx_ne_u32_e32 0, v11
	s_xor_b32 s17, exec_lo, s17
; %bb.21:                               ;   in Loop: Header=BB10_4 Depth=1
	v_clz_i32_u32_e32 v7, v11
	v_lshlrev_b32_e32 v9, 31, v9
	s_delay_alu instid0(VALU_DEP_2) | instskip(SKIP_1) | instid1(VALU_DEP_2)
	v_xor_b32_e32 v10, 31, v7
	v_lshlrev_b32_e32 v7, 23, v7
	v_sub_nc_u32_e32 v10, 9, v10
	s_delay_alu instid0(VALU_DEP_1) | instskip(NEXT) | instid1(VALU_DEP_1)
	v_lshlrev_b32_e32 v8, v10, v8
	v_lshlrev_b32_e32 v8, 14, v8
	s_delay_alu instid0(VALU_DEP_1) | instskip(NEXT) | instid1(VALU_DEP_1)
	v_and_or_b32 v8, 0x7fc000, v8, v9
	v_sub_nc_u32_e32 v7, v8, v7
	s_delay_alu instid0(VALU_DEP_1)
	v_add_nc_u32_e32 v7, 0x43000000, v7
; %bb.22:                               ;   in Loop: Header=BB10_4 Depth=1
	s_and_not1_saveexec_b32 s17, s17
	s_delay_alu instid0(SALU_CYCLE_1)
	s_or_b32 exec_lo, exec_lo, s17
.LBB10_23:                              ;   in Loop: Header=BB10_4 Depth=1
	s_delay_alu instid0(SALU_CYCLE_1)
	s_or_b32 exec_lo, exec_lo, s16
.LBB10_24:                              ;   in Loop: Header=BB10_4 Depth=1
	s_delay_alu instid0(SALU_CYCLE_1) | instskip(SKIP_2) | instid1(VALU_DEP_1)
	s_or_b32 exec_lo, exec_lo, s2
	global_load_b32 v8, v[3:4], off offset:4
	v_and_b32_e32 v9, 31, v1
                                        ; implicit-def: $vgpr10
	v_add_co_u32 v3, s2, v3, v9
	s_delay_alu instid0(VALU_DEP_1)
	v_add_co_ci_u32_e64 v4, s2, 0, v4, s2
	s_mov_b32 s2, exec_lo
	v_cmpx_lt_u32_e32 15, v9
	s_xor_b32 s2, exec_lo, s2
	s_cbranch_execz .LBB10_26
; %bb.25:                               ;   in Loop: Header=BB10_4 Depth=1
	global_load_u8 v3, v[3:4], off offset:-8
	s_waitcnt vmcnt(0)
	v_lshrrev_b16 v10, 4, v3
                                        ; implicit-def: $vgpr3_vgpr4
.LBB10_26:                              ;   in Loop: Header=BB10_4 Depth=1
	s_and_not1_saveexec_b32 s2, s2
	s_cbranch_execz .LBB10_3
; %bb.27:                               ;   in Loop: Header=BB10_4 Depth=1
	global_load_u8 v3, v[3:4], off offset:8
	s_waitcnt vmcnt(0)
	v_and_b32_e32 v10, 15, v3
	s_branch .LBB10_3
.LBB10_28:
	s_or_b32 exec_lo, exec_lo, s13
.LBB10_29:
	s_delay_alu instid0(SALU_CYCLE_1) | instskip(SKIP_2) | instid1(VALU_DEP_1)
	s_or_b32 exec_lo, exec_lo, s12
	v_mbcnt_lo_u32_b32 v4, -1, 0
	s_mov_b32 s2, exec_lo
	v_cmp_gt_u32_e32 vcc_lo, 16, v4
	v_cndmask_b32_e64 v1, 0, 1, vcc_lo
	v_cmp_gt_u32_e32 vcc_lo, 24, v4
	s_delay_alu instid0(VALU_DEP_2) | instskip(SKIP_2) | instid1(VALU_DEP_3)
	v_lshlrev_b32_e32 v1, 4, v1
	v_cndmask_b32_e64 v2, 0, 1, vcc_lo
	v_cmp_gt_u32_e32 vcc_lo, 28, v4
	v_add_lshl_u32 v1, v1, v4, 2
	ds_bpermute_b32 v3, v1, v5
	s_waitcnt lgkmcnt(0)
	v_dual_add_f32 v5, v5, v3 :: v_dual_lshlrev_b32 v2, 3, v2
	s_delay_alu instid0(VALU_DEP_1) | instskip(SKIP_4) | instid1(VALU_DEP_1)
	v_add_lshl_u32 v2, v2, v4, 2
	v_cndmask_b32_e64 v3, 0, 1, vcc_lo
	v_cmp_gt_u32_e32 vcc_lo, 30, v4
	ds_bpermute_b32 v6, v2, v5
	v_lshlrev_b32_e32 v3, 2, v3
	v_add_lshl_u32 v3, v3, v4, 2
	s_waitcnt lgkmcnt(0)
	v_add_f32_e32 v6, v5, v6
	v_cndmask_b32_e64 v5, 0, 1, vcc_lo
	v_cmp_ne_u32_e32 vcc_lo, 31, v4
	ds_bpermute_b32 v7, v3, v6
	v_lshlrev_b32_e32 v5, 1, v5
	v_add_co_ci_u32_e32 v8, vcc_lo, 0, v4, vcc_lo
	s_waitcnt lgkmcnt(0)
	v_add_f32_e32 v6, v6, v7
	s_delay_alu instid0(VALU_DEP_3)
	v_add_lshl_u32 v5, v5, v4, 2
	ds_bpermute_b32 v7, v5, v6
	s_waitcnt lgkmcnt(0)
	v_dual_add_f32 v4, v6, v7 :: v_dual_and_b32 v7, 31, v0
	v_lshlrev_b32_e32 v6, 2, v8
	ds_bpermute_b32 v8, v6, v4
	v_cmpx_eq_u32_e32 0, v7
	s_cbranch_execz .LBB10_31
; %bb.30:
	s_waitcnt lgkmcnt(0)
	v_add_f32_e32 v4, v4, v8
	v_lshrrev_b32_e32 v8, 3, v0
	ds_store_b32 v8, v4
.LBB10_31:
	s_or_b32 exec_lo, exec_lo, s2
	s_waitcnt lgkmcnt(0)
	s_barrier
	buffer_gl0_inv
	s_load_b32 s0, s[0:1], 0x3c
	v_mov_b32_e32 v4, 0
	s_waitcnt lgkmcnt(0)
	s_and_b32 s0, s0, 0xffff
	s_delay_alu instid0(SALU_CYCLE_1) | instskip(NEXT) | instid1(SALU_CYCLE_1)
	s_add_i32 s0, s0, 31
	s_lshr_b32 s0, s0, 5
	s_delay_alu instid0(SALU_CYCLE_1)
	v_cmp_gt_u32_e32 vcc_lo, s0, v0
	s_and_saveexec_b32 s0, vcc_lo
	s_cbranch_execz .LBB10_33
; %bb.32:
	v_lshlrev_b32_e32 v4, 2, v7
	ds_load_b32 v4, v4
.LBB10_33:
	s_or_b32 exec_lo, exec_lo, s0
	s_delay_alu instid0(SALU_CYCLE_1)
	s_mov_b32 s0, exec_lo
	v_cmpx_gt_u32_e32 32, v0
	s_cbranch_execz .LBB10_35
; %bb.34:
	s_waitcnt lgkmcnt(0)
	ds_bpermute_b32 v1, v1, v4
	s_waitcnt lgkmcnt(0)
	v_add_f32_e32 v1, v4, v1
	ds_bpermute_b32 v2, v2, v1
	s_waitcnt lgkmcnt(0)
	v_add_f32_e32 v1, v1, v2
	;; [unrolled: 3-line block ×5, first 2 shown]
.LBB10_35:
	s_or_b32 exec_lo, exec_lo, s0
	s_mov_b32 s1, 0
	s_mov_b32 s0, exec_lo
	v_cmpx_eq_u32_e32 0, v0
	s_cbranch_execz .LBB10_39
; %bb.36:
	s_lshr_b32 s0, s8, 2
	s_delay_alu instid0(SALU_CYCLE_1) | instskip(NEXT) | instid1(SALU_CYCLE_1)
	s_add_i32 s0, s0, s15
	s_lshl_b64 s[0:1], s[0:1], 2
	s_delay_alu instid0(SALU_CYCLE_1)
	s_add_u32 s0, s10, s0
	s_addc_u32 s1, s11, s1
	s_cmp_eq_u32 s9, 0
	s_cbranch_scc1 .LBB10_38
; %bb.37:
	s_load_b32 s2, s[0:1], 0x0
	s_waitcnt lgkmcnt(0)
	v_add_f32_e32 v4, s2, v4
.LBB10_38:
	v_mov_b32_e32 v0, 0
	s_waitcnt lgkmcnt(0)
	global_store_b32 v0, v4, s[0:1]
.LBB10_39:
	s_nop 0
	s_sendmsg sendmsg(MSG_DEALLOC_VGPRS)
	s_endpgm
	.section	.rodata,"a",@progbits
	.p2align	6, 0x0
	.amdhsa_kernel dmmv_q5_1
		.amdhsa_group_segment_fixed_size 128
		.amdhsa_private_segment_fixed_size 0
		.amdhsa_kernarg_size 304
		.amdhsa_user_sgpr_count 15
		.amdhsa_user_sgpr_dispatch_ptr 0
		.amdhsa_user_sgpr_queue_ptr 0
		.amdhsa_user_sgpr_kernarg_segment_ptr 1
		.amdhsa_user_sgpr_dispatch_id 0
		.amdhsa_user_sgpr_private_segment_size 0
		.amdhsa_wavefront_size32 1
		.amdhsa_uses_dynamic_stack 0
		.amdhsa_enable_private_segment 0
		.amdhsa_system_sgpr_workgroup_id_x 1
		.amdhsa_system_sgpr_workgroup_id_y 0
		.amdhsa_system_sgpr_workgroup_id_z 0
		.amdhsa_system_sgpr_workgroup_info 0
		.amdhsa_system_vgpr_workitem_id 0
		.amdhsa_next_free_vgpr 12
		.amdhsa_next_free_sgpr 20
		.amdhsa_reserve_vcc 1
		.amdhsa_float_round_mode_32 0
		.amdhsa_float_round_mode_16_64 0
		.amdhsa_float_denorm_mode_32 3
		.amdhsa_float_denorm_mode_16_64 3
		.amdhsa_dx10_clamp 1
		.amdhsa_ieee_mode 1
		.amdhsa_fp16_overflow 0
		.amdhsa_workgroup_processor_mode 1
		.amdhsa_memory_ordered 1
		.amdhsa_forward_progress 0
		.amdhsa_shared_vgpr_count 0
		.amdhsa_exception_fp_ieee_invalid_op 0
		.amdhsa_exception_fp_denorm_src 0
		.amdhsa_exception_fp_ieee_div_zero 0
		.amdhsa_exception_fp_ieee_overflow 0
		.amdhsa_exception_fp_ieee_underflow 0
		.amdhsa_exception_fp_ieee_inexact 0
		.amdhsa_exception_int_div_zero 0
	.end_amdhsa_kernel
	.text
.Lfunc_end10:
	.size	dmmv_q5_1, .Lfunc_end10-dmmv_q5_1
                                        ; -- End function
	.section	.AMDGPU.csdata,"",@progbits
; Kernel info:
; codeLenInByte = 1508
; NumSgprs: 22
; NumVgprs: 12
; ScratchSize: 0
; MemoryBound: 0
; FloatMode: 240
; IeeeMode: 1
; LDSByteSize: 128 bytes/workgroup (compile time only)
; SGPRBlocks: 2
; VGPRBlocks: 1
; NumSGPRsForWavesPerEU: 22
; NumVGPRsForWavesPerEU: 12
; Occupancy: 16
; WaveLimiterHint : 0
; COMPUTE_PGM_RSRC2:SCRATCH_EN: 0
; COMPUTE_PGM_RSRC2:USER_SGPR: 15
; COMPUTE_PGM_RSRC2:TRAP_HANDLER: 0
; COMPUTE_PGM_RSRC2:TGID_X_EN: 1
; COMPUTE_PGM_RSRC2:TGID_Y_EN: 0
; COMPUTE_PGM_RSRC2:TGID_Z_EN: 0
; COMPUTE_PGM_RSRC2:TIDIG_COMP_CNT: 0
	.text
	.protected	dmmv_q5k                ; -- Begin function dmmv_q5k
	.globl	dmmv_q5k
	.p2align	8
	.type	dmmv_q5k,@function
dmmv_q5k:                               ; @dmmv_q5k
; %bb.0:
	s_load_b64 s[2:3], s[0:1], 0x18
	s_add_u32 s8, s0, 24
	s_addc_u32 s9, s1, 0
	s_waitcnt lgkmcnt(0)
	s_cmp_ge_u32 s15, s2
	s_cbranch_scc1 .LBB11_39
; %bb.1:
	s_clause 0x2
	s_load_b64 s[10:11], s[0:1], 0x10
	s_load_b128 s[4:7], s[0:1], 0x0
	s_load_b64 s[8:9], s[8:9], 0x10
	v_mov_b32_e32 v5, 0
	s_mov_b32 s12, exec_lo
	v_cmpx_gt_u32_e64 s3, v0
	s_cbranch_execz .LBB11_29
; %bb.2:
	s_clause 0x1
	s_load_b64 s[16:17], s[0:1], 0x20
	s_load_b32 s2, s[0:1], 0x3c
	s_lshr_b32 s14, s3, 8
	v_dual_mov_b32 v2, 0 :: v_dual_mov_b32 v5, 0
	s_mul_hi_u32 s18, s15, s14
	s_mul_i32 s14, s15, s14
	s_mulk_i32 s18, 0xb0
	s_mul_hi_u32 s19, s14, 0xb0
	s_mulk_i32 s14, 0xb0
	v_mov_b32_e32 v1, v0
	s_mov_b32 s13, 0
	s_waitcnt lgkmcnt(0)
	s_add_u32 s4, s4, s16
	s_addc_u32 s5, s5, 0
	s_add_i32 s19, s19, s18
	s_add_u32 s4, s4, s14
	s_addc_u32 s5, s5, s19
	s_and_b32 s14, s17, -4
	s_delay_alu instid0(SALU_CYCLE_1)
	s_add_u32 s6, s6, s14
	s_addc_u32 s7, s7, 0
	s_and_b32 s14, s2, 0xffff
	s_branch .LBB11_4
.LBB11_3:                               ;   in Loop: Header=BB11_4 Depth=1
	s_or_b32 exec_lo, exec_lo, s2
	v_lshlrev_b64 v[3:4], 2, v[1:2]
	v_add_nc_u32_e32 v1, s14, v1
	s_delay_alu instid0(VALU_DEP_2) | instskip(NEXT) | instid1(VALU_DEP_3)
	v_add_co_u32 v3, vcc_lo, s6, v3
	v_add_co_ci_u32_e32 v4, vcc_lo, s7, v4, vcc_lo
	v_cmp_eq_u32_e32 vcc_lo, 0, v11
	global_load_b32 v3, v[3:4], off
	s_waitcnt vmcnt(2)
	v_lshrrev_b32_e32 v4, 4, v8
	s_delay_alu instid0(VALU_DEP_1)
	v_cndmask_b32_e32 v4, v4, v8, vcc_lo
	s_waitcnt vmcnt(1)
	v_and_b32_e32 v8, 0xff, v9
	v_cvt_f32_ubyte0_e32 v9, v13
	v_cmp_le_u32_e32 vcc_lo, s3, v1
	v_and_b32_e32 v4, 15, v4
	s_delay_alu instid0(VALU_DEP_4) | instskip(SKIP_1) | instid1(VALU_DEP_1)
	v_bfe_u32 v8, v8, v10, 1
	s_or_b32 s13, vcc_lo, s13
	v_lshl_or_b32 v4, v8, 4, v4
	v_cvt_f32_ubyte0_e32 v8, v12
	v_mul_f32_e32 v6, v6, v9
	s_delay_alu instid0(VALU_DEP_3) | instskip(NEXT) | instid1(VALU_DEP_3)
	v_cvt_f32_ubyte0_e32 v4, v4
	v_mul_f32_e32 v7, v7, v8
	s_delay_alu instid0(VALU_DEP_1) | instskip(SKIP_1) | instid1(VALU_DEP_1)
	v_fma_f32 v4, v6, v4, -v7
	s_waitcnt vmcnt(0)
	v_fmac_f32_e32 v5, v3, v4
	s_and_not1_b32 exec_lo, exec_lo, s13
	s_cbranch_execz .LBB11_28
.LBB11_4:                               ; =>This Inner Loop Header: Depth=1
	v_lshrrev_b32_e32 v3, 8, v1
	s_mov_b32 s2, exec_lo
	s_delay_alu instid0(VALU_DEP_1) | instskip(SKIP_3) | instid1(VALU_DEP_1)
	v_mul_u32_u24_e32 v3, 0xb0, v3
	global_load_u16 v4, v3, s[4:5]
	s_waitcnt vmcnt(0)
	v_lshrrev_b16 v6, 8, v4
	v_and_b32_e32 v6, 0xffff, v6
	s_delay_alu instid0(VALU_DEP_1) | instskip(SKIP_2) | instid1(VALU_DEP_3)
	v_lshrrev_b32_e32 v7, 7, v6
	v_bfe_u32 v8, v6, 2, 5
	v_perm_b32 v4, v6, v4, 0x6050400
	v_lshlrev_b32_e32 v6, 31, v7
	s_delay_alu instid0(VALU_DEP_3)
	v_cmpx_lt_i32_e32 30, v8
	s_xor_b32 s2, exec_lo, s2
; %bb.5:                                ;   in Loop: Header=BB11_4 Depth=1
	v_lshlrev_b32_e32 v6, 31, v7
	v_lshlrev_b32_e32 v4, 13, v4
                                        ; implicit-def: $vgpr8
                                        ; implicit-def: $vgpr7
	s_delay_alu instid0(VALU_DEP_1)
	v_or3_b32 v6, v4, v6, 0x7f800000
                                        ; implicit-def: $vgpr4
; %bb.6:                                ;   in Loop: Header=BB11_4 Depth=1
	s_and_not1_saveexec_b32 s2, s2
	s_cbranch_execz .LBB11_14
; %bb.7:                                ;   in Loop: Header=BB11_4 Depth=1
	v_and_b32_e32 v9, 0x3ff, v4
	s_mov_b32 s16, exec_lo
	v_cmpx_ne_u32_e32 0, v8
	s_xor_b32 s16, exec_lo, s16
; %bb.8:                                ;   in Loop: Header=BB11_4 Depth=1
	v_lshlrev_b32_e32 v4, 31, v7
	v_lshlrev_b32_e32 v6, 23, v8
	v_lshlrev_b32_e32 v7, 13, v9
                                        ; implicit-def: $vgpr9
	s_delay_alu instid0(VALU_DEP_1) | instskip(NEXT) | instid1(VALU_DEP_1)
	v_or3_b32 v4, v6, v4, v7
                                        ; implicit-def: $vgpr7
	v_add_nc_u32_e32 v6, 0x38000000, v4
                                        ; implicit-def: $vgpr4
; %bb.9:                                ;   in Loop: Header=BB11_4 Depth=1
	s_and_not1_saveexec_b32 s16, s16
	s_cbranch_execz .LBB11_13
; %bb.10:                               ;   in Loop: Header=BB11_4 Depth=1
	s_mov_b32 s17, exec_lo
	v_cmpx_ne_u32_e32 0, v9
	s_xor_b32 s17, exec_lo, s17
; %bb.11:                               ;   in Loop: Header=BB11_4 Depth=1
	v_clz_i32_u32_e32 v6, v9
	v_lshlrev_b32_e32 v7, 31, v7
	s_delay_alu instid0(VALU_DEP_2) | instskip(SKIP_1) | instid1(VALU_DEP_2)
	v_xor_b32_e32 v8, 31, v6
	v_lshlrev_b32_e32 v6, 23, v6
	v_sub_nc_u32_e32 v8, 9, v8
	s_delay_alu instid0(VALU_DEP_1) | instskip(NEXT) | instid1(VALU_DEP_1)
	v_lshlrev_b32_e32 v4, v8, v4
	v_lshlrev_b32_e32 v4, 14, v4
	s_delay_alu instid0(VALU_DEP_1) | instskip(NEXT) | instid1(VALU_DEP_1)
	v_and_or_b32 v4, 0x7fc000, v4, v7
	v_sub_nc_u32_e32 v4, v4, v6
	s_delay_alu instid0(VALU_DEP_1)
	v_add_nc_u32_e32 v6, 0x43000000, v4
; %bb.12:                               ;   in Loop: Header=BB11_4 Depth=1
	s_and_not1_saveexec_b32 s17, s17
	s_delay_alu instid0(SALU_CYCLE_1)
	s_or_b32 exec_lo, exec_lo, s17
.LBB11_13:                              ;   in Loop: Header=BB11_4 Depth=1
	s_delay_alu instid0(SALU_CYCLE_1)
	s_or_b32 exec_lo, exec_lo, s16
.LBB11_14:                              ;   in Loop: Header=BB11_4 Depth=1
	s_delay_alu instid0(SALU_CYCLE_1) | instskip(SKIP_1) | instid1(VALU_DEP_1)
	s_or_b32 exec_lo, exec_lo, s2
	v_add_co_u32 v3, s2, s4, v3
	v_add_co_ci_u32_e64 v4, null, s5, 0, s2
	s_mov_b32 s2, exec_lo
	global_load_u16 v7, v[3:4], off offset:2
	s_waitcnt vmcnt(0)
	v_lshrrev_b16 v8, 8, v7
	s_delay_alu instid0(VALU_DEP_1) | instskip(NEXT) | instid1(VALU_DEP_1)
	v_and_b32_e32 v8, 0xffff, v8
	v_lshrrev_b32_e32 v9, 7, v8
	v_bfe_u32 v10, v8, 2, 5
	v_perm_b32 v8, v8, v7, 0x6050400
	s_delay_alu instid0(VALU_DEP_3) | instskip(NEXT) | instid1(VALU_DEP_3)
	v_lshlrev_b32_e32 v7, 31, v9
	v_cmpx_lt_i32_e32 30, v10
	s_xor_b32 s2, exec_lo, s2
; %bb.15:                               ;   in Loop: Header=BB11_4 Depth=1
	v_lshlrev_b32_e32 v7, 31, v9
	v_lshlrev_b32_e32 v8, 13, v8
                                        ; implicit-def: $vgpr10
                                        ; implicit-def: $vgpr9
	s_delay_alu instid0(VALU_DEP_1)
	v_or3_b32 v7, v8, v7, 0x7f800000
                                        ; implicit-def: $vgpr8
; %bb.16:                               ;   in Loop: Header=BB11_4 Depth=1
	s_and_not1_saveexec_b32 s2, s2
	s_cbranch_execz .LBB11_24
; %bb.17:                               ;   in Loop: Header=BB11_4 Depth=1
	v_and_b32_e32 v11, 0x3ff, v8
	s_mov_b32 s16, exec_lo
	v_cmpx_ne_u32_e32 0, v10
	s_xor_b32 s16, exec_lo, s16
; %bb.18:                               ;   in Loop: Header=BB11_4 Depth=1
	v_lshlrev_b32_e32 v7, 31, v9
	v_lshlrev_b32_e32 v8, 23, v10
	;; [unrolled: 1-line block ×3, first 2 shown]
                                        ; implicit-def: $vgpr11
	s_delay_alu instid0(VALU_DEP_1) | instskip(NEXT) | instid1(VALU_DEP_1)
	v_or3_b32 v7, v8, v7, v9
                                        ; implicit-def: $vgpr8
                                        ; implicit-def: $vgpr9
	v_add_nc_u32_e32 v7, 0x38000000, v7
; %bb.19:                               ;   in Loop: Header=BB11_4 Depth=1
	s_and_not1_saveexec_b32 s16, s16
	s_cbranch_execz .LBB11_23
; %bb.20:                               ;   in Loop: Header=BB11_4 Depth=1
	s_mov_b32 s17, exec_lo
	v_cmpx_ne_u32_e32 0, v11
	s_xor_b32 s17, exec_lo, s17
; %bb.21:                               ;   in Loop: Header=BB11_4 Depth=1
	v_clz_i32_u32_e32 v7, v11
	v_lshlrev_b32_e32 v9, 31, v9
	s_delay_alu instid0(VALU_DEP_2) | instskip(SKIP_1) | instid1(VALU_DEP_2)
	v_xor_b32_e32 v10, 31, v7
	v_lshlrev_b32_e32 v7, 23, v7
	v_sub_nc_u32_e32 v10, 9, v10
	s_delay_alu instid0(VALU_DEP_1) | instskip(NEXT) | instid1(VALU_DEP_1)
	v_lshlrev_b32_e32 v8, v10, v8
	v_lshlrev_b32_e32 v8, 14, v8
	s_delay_alu instid0(VALU_DEP_1) | instskip(NEXT) | instid1(VALU_DEP_1)
	v_and_or_b32 v8, 0x7fc000, v8, v9
	v_sub_nc_u32_e32 v7, v8, v7
	s_delay_alu instid0(VALU_DEP_1)
	v_add_nc_u32_e32 v7, 0x43000000, v7
; %bb.22:                               ;   in Loop: Header=BB11_4 Depth=1
	s_and_not1_saveexec_b32 s17, s17
	s_delay_alu instid0(SALU_CYCLE_1)
	s_or_b32 exec_lo, exec_lo, s17
.LBB11_23:                              ;   in Loop: Header=BB11_4 Depth=1
	s_delay_alu instid0(SALU_CYCLE_1)
	s_or_b32 exec_lo, exec_lo, s16
.LBB11_24:                              ;   in Loop: Header=BB11_4 Depth=1
	s_delay_alu instid0(SALU_CYCLE_1) | instskip(SKIP_2) | instid1(VALU_DEP_1)
	s_or_b32 exec_lo, exec_lo, s2
	v_bfe_u32 v12, v1, 6, 2
	v_and_b32_e32 v10, 31, v1
                                        ; implicit-def: $vgpr13
	v_lshl_or_b32 v8, v12, 5, v10
	s_delay_alu instid0(VALU_DEP_1)
	v_add_co_u32 v8, vcc_lo, v3, v8
	v_add_co_ci_u32_e32 v9, vcc_lo, 0, v4, vcc_lo
	v_add_co_u32 v10, vcc_lo, v3, v10
	v_add_co_ci_u32_e32 v11, vcc_lo, 0, v4, vcc_lo
	s_clause 0x1
	global_load_u8 v8, v[8:9], off offset:48
	global_load_u8 v9, v[10:11], off offset:16
	v_bfe_u32 v11, v1, 5, 1
	v_cmp_lt_u32_e32 vcc_lo, 1, v12
	s_delay_alu instid0(VALU_DEP_2) | instskip(NEXT) | instid1(VALU_DEP_1)
	v_lshl_or_b32 v10, v12, 1, v11
                                        ; implicit-def: $vgpr12
	v_add_co_u32 v3, s2, v3, v10
	s_delay_alu instid0(VALU_DEP_1) | instskip(SKIP_1) | instid1(SALU_CYCLE_1)
	v_add_co_ci_u32_e64 v4, s2, 0, v4, s2
	s_and_saveexec_b32 s2, vcc_lo
	s_xor_b32 s2, exec_lo, s2
	s_cbranch_execz .LBB11_26
; %bb.25:                               ;   in Loop: Header=BB11_4 Depth=1
	s_clause 0x2
	global_load_u8 v12, v[3:4], off
	global_load_u8 v13, v[3:4], off offset:4
	global_load_u8 v3, v[3:4], off offset:8
	s_waitcnt vmcnt(2)
	v_lshrrev_b16 v4, 2, v12
	s_waitcnt vmcnt(1)
	v_lshrrev_b16 v12, 2, v13
	s_waitcnt vmcnt(0)
	v_and_b32_e32 v13, 15, v3
	v_lshrrev_b16 v3, 4, v3
	v_and_b32_e32 v4, 48, v4
	v_and_b32_e32 v12, 48, v12
	s_delay_alu instid0(VALU_DEP_2) | instskip(NEXT) | instid1(VALU_DEP_2)
	v_or_b32_e32 v13, v4, v13
	v_or_b32_e32 v12, v12, v3
                                        ; implicit-def: $vgpr3_vgpr4
.LBB11_26:                              ;   in Loop: Header=BB11_4 Depth=1
	s_and_not1_saveexec_b32 s2, s2
	s_cbranch_execz .LBB11_3
; %bb.27:                               ;   in Loop: Header=BB11_4 Depth=1
	s_clause 0x1
	global_load_u8 v12, v[3:4], off offset:4
	global_load_u8 v3, v[3:4], off offset:8
	s_waitcnt vmcnt(1)
	v_and_b32_e32 v13, 63, v12
	s_waitcnt vmcnt(0)
	v_and_b32_e32 v12, 63, v3
	s_branch .LBB11_3
.LBB11_28:
	s_or_b32 exec_lo, exec_lo, s13
.LBB11_29:
	s_delay_alu instid0(SALU_CYCLE_1) | instskip(SKIP_2) | instid1(VALU_DEP_1)
	s_or_b32 exec_lo, exec_lo, s12
	v_mbcnt_lo_u32_b32 v4, -1, 0
	s_mov_b32 s2, exec_lo
	v_cmp_gt_u32_e32 vcc_lo, 16, v4
	v_cndmask_b32_e64 v1, 0, 1, vcc_lo
	v_cmp_gt_u32_e32 vcc_lo, 24, v4
	s_delay_alu instid0(VALU_DEP_2) | instskip(SKIP_2) | instid1(VALU_DEP_3)
	v_lshlrev_b32_e32 v1, 4, v1
	v_cndmask_b32_e64 v2, 0, 1, vcc_lo
	v_cmp_gt_u32_e32 vcc_lo, 28, v4
	v_add_lshl_u32 v1, v1, v4, 2
	ds_bpermute_b32 v3, v1, v5
	s_waitcnt lgkmcnt(0)
	v_dual_add_f32 v5, v5, v3 :: v_dual_lshlrev_b32 v2, 3, v2
	s_delay_alu instid0(VALU_DEP_1) | instskip(SKIP_4) | instid1(VALU_DEP_1)
	v_add_lshl_u32 v2, v2, v4, 2
	v_cndmask_b32_e64 v3, 0, 1, vcc_lo
	v_cmp_gt_u32_e32 vcc_lo, 30, v4
	ds_bpermute_b32 v6, v2, v5
	v_lshlrev_b32_e32 v3, 2, v3
	v_add_lshl_u32 v3, v3, v4, 2
	s_waitcnt lgkmcnt(0)
	v_add_f32_e32 v6, v5, v6
	v_cndmask_b32_e64 v5, 0, 1, vcc_lo
	v_cmp_ne_u32_e32 vcc_lo, 31, v4
	ds_bpermute_b32 v7, v3, v6
	v_lshlrev_b32_e32 v5, 1, v5
	v_add_co_ci_u32_e32 v8, vcc_lo, 0, v4, vcc_lo
	s_waitcnt lgkmcnt(0)
	v_add_f32_e32 v6, v6, v7
	s_delay_alu instid0(VALU_DEP_3)
	v_add_lshl_u32 v5, v5, v4, 2
	ds_bpermute_b32 v7, v5, v6
	s_waitcnt lgkmcnt(0)
	v_dual_add_f32 v4, v6, v7 :: v_dual_and_b32 v7, 31, v0
	v_lshlrev_b32_e32 v6, 2, v8
	ds_bpermute_b32 v8, v6, v4
	v_cmpx_eq_u32_e32 0, v7
	s_cbranch_execz .LBB11_31
; %bb.30:
	s_waitcnt lgkmcnt(0)
	v_add_f32_e32 v4, v4, v8
	v_lshrrev_b32_e32 v8, 3, v0
	ds_store_b32 v8, v4
.LBB11_31:
	s_or_b32 exec_lo, exec_lo, s2
	s_waitcnt lgkmcnt(0)
	s_barrier
	buffer_gl0_inv
	s_load_b32 s0, s[0:1], 0x3c
	v_mov_b32_e32 v4, 0
	s_waitcnt lgkmcnt(0)
	s_and_b32 s0, s0, 0xffff
	s_delay_alu instid0(SALU_CYCLE_1) | instskip(NEXT) | instid1(SALU_CYCLE_1)
	s_add_i32 s0, s0, 31
	s_lshr_b32 s0, s0, 5
	s_delay_alu instid0(SALU_CYCLE_1)
	v_cmp_gt_u32_e32 vcc_lo, s0, v0
	s_and_saveexec_b32 s0, vcc_lo
	s_cbranch_execz .LBB11_33
; %bb.32:
	v_lshlrev_b32_e32 v4, 2, v7
	ds_load_b32 v4, v4
.LBB11_33:
	s_or_b32 exec_lo, exec_lo, s0
	s_delay_alu instid0(SALU_CYCLE_1)
	s_mov_b32 s0, exec_lo
	v_cmpx_gt_u32_e32 32, v0
	s_cbranch_execz .LBB11_35
; %bb.34:
	s_waitcnt lgkmcnt(0)
	ds_bpermute_b32 v1, v1, v4
	s_waitcnt lgkmcnt(0)
	v_add_f32_e32 v1, v4, v1
	ds_bpermute_b32 v2, v2, v1
	s_waitcnt lgkmcnt(0)
	v_add_f32_e32 v1, v1, v2
	;; [unrolled: 3-line block ×5, first 2 shown]
.LBB11_35:
	s_or_b32 exec_lo, exec_lo, s0
	s_mov_b32 s1, 0
	s_mov_b32 s0, exec_lo
	v_cmpx_eq_u32_e32 0, v0
	s_cbranch_execz .LBB11_39
; %bb.36:
	s_lshr_b32 s0, s8, 2
	s_delay_alu instid0(SALU_CYCLE_1) | instskip(NEXT) | instid1(SALU_CYCLE_1)
	s_add_i32 s0, s0, s15
	s_lshl_b64 s[0:1], s[0:1], 2
	s_delay_alu instid0(SALU_CYCLE_1)
	s_add_u32 s0, s10, s0
	s_addc_u32 s1, s11, s1
	s_cmp_eq_u32 s9, 0
	s_cbranch_scc1 .LBB11_38
; %bb.37:
	s_load_b32 s2, s[0:1], 0x0
	s_waitcnt lgkmcnt(0)
	v_add_f32_e32 v4, s2, v4
.LBB11_38:
	v_mov_b32_e32 v0, 0
	s_waitcnt lgkmcnt(0)
	global_store_b32 v0, v4, s[0:1]
.LBB11_39:
	s_nop 0
	s_sendmsg sendmsg(MSG_DEALLOC_VGPRS)
	s_endpgm
	.section	.rodata,"a",@progbits
	.p2align	6, 0x0
	.amdhsa_kernel dmmv_q5k
		.amdhsa_group_segment_fixed_size 128
		.amdhsa_private_segment_fixed_size 0
		.amdhsa_kernarg_size 304
		.amdhsa_user_sgpr_count 15
		.amdhsa_user_sgpr_dispatch_ptr 0
		.amdhsa_user_sgpr_queue_ptr 0
		.amdhsa_user_sgpr_kernarg_segment_ptr 1
		.amdhsa_user_sgpr_dispatch_id 0
		.amdhsa_user_sgpr_private_segment_size 0
		.amdhsa_wavefront_size32 1
		.amdhsa_uses_dynamic_stack 0
		.amdhsa_enable_private_segment 0
		.amdhsa_system_sgpr_workgroup_id_x 1
		.amdhsa_system_sgpr_workgroup_id_y 0
		.amdhsa_system_sgpr_workgroup_id_z 0
		.amdhsa_system_sgpr_workgroup_info 0
		.amdhsa_system_vgpr_workitem_id 0
		.amdhsa_next_free_vgpr 14
		.amdhsa_next_free_sgpr 20
		.amdhsa_reserve_vcc 1
		.amdhsa_float_round_mode_32 0
		.amdhsa_float_round_mode_16_64 0
		.amdhsa_float_denorm_mode_32 3
		.amdhsa_float_denorm_mode_16_64 3
		.amdhsa_dx10_clamp 1
		.amdhsa_ieee_mode 1
		.amdhsa_fp16_overflow 0
		.amdhsa_workgroup_processor_mode 1
		.amdhsa_memory_ordered 1
		.amdhsa_forward_progress 0
		.amdhsa_shared_vgpr_count 0
		.amdhsa_exception_fp_ieee_invalid_op 0
		.amdhsa_exception_fp_denorm_src 0
		.amdhsa_exception_fp_ieee_div_zero 0
		.amdhsa_exception_fp_ieee_overflow 0
		.amdhsa_exception_fp_ieee_underflow 0
		.amdhsa_exception_fp_ieee_inexact 0
		.amdhsa_exception_int_div_zero 0
	.end_amdhsa_kernel
	.text
.Lfunc_end11:
	.size	dmmv_q5k, .Lfunc_end11-dmmv_q5k
                                        ; -- End function
	.section	.AMDGPU.csdata,"",@progbits
; Kernel info:
; codeLenInByte = 1728
; NumSgprs: 22
; NumVgprs: 14
; ScratchSize: 0
; MemoryBound: 0
; FloatMode: 240
; IeeeMode: 1
; LDSByteSize: 128 bytes/workgroup (compile time only)
; SGPRBlocks: 2
; VGPRBlocks: 1
; NumSGPRsForWavesPerEU: 22
; NumVGPRsForWavesPerEU: 14
; Occupancy: 16
; WaveLimiterHint : 0
; COMPUTE_PGM_RSRC2:SCRATCH_EN: 0
; COMPUTE_PGM_RSRC2:USER_SGPR: 15
; COMPUTE_PGM_RSRC2:TRAP_HANDLER: 0
; COMPUTE_PGM_RSRC2:TGID_X_EN: 1
; COMPUTE_PGM_RSRC2:TGID_Y_EN: 0
; COMPUTE_PGM_RSRC2:TGID_Z_EN: 0
; COMPUTE_PGM_RSRC2:TIDIG_COMP_CNT: 0
	.text
	.protected	dmmv_q6k                ; -- Begin function dmmv_q6k
	.globl	dmmv_q6k
	.p2align	8
	.type	dmmv_q6k,@function
dmmv_q6k:                               ; @dmmv_q6k
; %bb.0:
	s_load_b64 s[10:11], s[0:1], 0x18
	s_add_u32 s8, s0, 24
	s_addc_u32 s9, s1, 0
	s_waitcnt lgkmcnt(0)
	s_cmp_ge_u32 s15, s10
	s_cbranch_scc1 .LBB12_63
; %bb.1:
	s_clause 0x1
	s_load_b128 s[4:7], s[0:1], 0x0
	s_load_b64 s[2:3], s[0:1], 0x10
	v_and_b32_e32 v5, 31, v0
	s_mov_b32 s10, exec_lo
                                        ; implicit-def: $sgpr12
	v_cmpx_le_u32_e64 s11, v0
	s_xor_b32 s10, exec_lo, s10
; %bb.2:
	v_and_b32_e32 v5, 31, v0
	s_mov_b32 s12, 0
; %bb.3:
	s_or_saveexec_b32 s10, s10
	s_load_b64 s[8:9], s[8:9], 0x10
	v_mov_b32_e32 v6, s12
	s_xor_b32 exec_lo, exec_lo, s10
	s_cbranch_execz .LBB12_53
; %bb.4:
	s_load_b64 s[12:13], s[0:1], 0x20
	s_lshr_b32 s14, s11, 8
	v_lshrrev_b32_e32 v1, 8, v0
	s_mul_hi_u32 s16, s15, s14
	s_mul_i32 s14, s15, s14
	s_mulk_i32 s16, 0xd2
	s_mul_hi_u32 s17, s14, 0xd2
	s_mulk_i32 s14, 0xd2
	v_mul_u32_u24_e32 v3, 0xd2, v1
	s_waitcnt lgkmcnt(0)
	s_add_u32 s4, s4, s12
	s_addc_u32 s5, s5, 0
	s_add_i32 s17, s17, s16
	s_add_u32 s4, s4, s14
	s_addc_u32 s5, s5, s17
	s_mov_b32 s12, exec_lo
	global_load_u16 v1, v3, s[4:5] offset:208
	s_waitcnt vmcnt(0)
	v_lshrrev_b16 v2, 8, v1
	s_delay_alu instid0(VALU_DEP_1) | instskip(NEXT) | instid1(VALU_DEP_1)
	v_and_b32_e32 v2, 0xffff, v2
	v_lshrrev_b32_e32 v6, 7, v2
	v_bfe_u32 v7, v2, 2, 5
	v_perm_b32 v2, v2, v1, 0x6050400
	s_delay_alu instid0(VALU_DEP_3) | instskip(NEXT) | instid1(VALU_DEP_3)
	v_lshlrev_b32_e32 v1, 31, v6
	v_cmpx_lt_i32_e32 30, v7
	s_xor_b32 s12, exec_lo, s12
; %bb.5:
	v_lshlrev_b32_e32 v1, 31, v6
	v_lshlrev_b32_e32 v2, 13, v2
                                        ; implicit-def: $vgpr7
                                        ; implicit-def: $vgpr6
	s_delay_alu instid0(VALU_DEP_1)
	v_or3_b32 v1, v2, v1, 0x7f800000
                                        ; implicit-def: $vgpr2
; %bb.6:
	s_or_saveexec_b32 s12, s12
	v_add_co_u32 v3, s14, s4, v3
	s_delay_alu instid0(VALU_DEP_1)
	v_add_co_ci_u32_e64 v4, null, s5, 0, s14
	s_xor_b32 exec_lo, exec_lo, s12
	s_cbranch_execz .LBB12_14
; %bb.7:
	v_and_b32_e32 v8, 0x3ff, v2
	s_mov_b32 s14, exec_lo
	v_cmpx_ne_u32_e32 0, v7
	s_xor_b32 s14, exec_lo, s14
; %bb.8:
	v_lshlrev_b32_e32 v1, 31, v6
	v_lshlrev_b32_e32 v2, 23, v7
	;; [unrolled: 1-line block ×3, first 2 shown]
                                        ; implicit-def: $vgpr8
	s_delay_alu instid0(VALU_DEP_1) | instskip(NEXT) | instid1(VALU_DEP_1)
	v_or3_b32 v1, v2, v1, v6
                                        ; implicit-def: $vgpr2
                                        ; implicit-def: $vgpr6
	v_add_nc_u32_e32 v1, 0x38000000, v1
; %bb.9:
	s_and_not1_saveexec_b32 s14, s14
	s_cbranch_execz .LBB12_13
; %bb.10:
	s_mov_b32 s16, exec_lo
	v_cmpx_ne_u32_e32 0, v8
	s_xor_b32 s16, exec_lo, s16
; %bb.11:
	v_clz_i32_u32_e32 v1, v8
	v_lshlrev_b32_e32 v6, 31, v6
	s_delay_alu instid0(VALU_DEP_2) | instskip(SKIP_1) | instid1(VALU_DEP_2)
	v_xor_b32_e32 v7, 31, v1
	v_lshlrev_b32_e32 v1, 23, v1
	v_sub_nc_u32_e32 v7, 9, v7
	s_delay_alu instid0(VALU_DEP_1) | instskip(NEXT) | instid1(VALU_DEP_1)
	v_lshlrev_b32_e32 v2, v7, v2
	v_lshlrev_b32_e32 v2, 14, v2
	s_delay_alu instid0(VALU_DEP_1) | instskip(NEXT) | instid1(VALU_DEP_1)
	v_and_or_b32 v2, 0x7fc000, v2, v6
	v_sub_nc_u32_e32 v1, v2, v1
	s_delay_alu instid0(VALU_DEP_1)
	v_add_nc_u32_e32 v1, 0x43000000, v1
; %bb.12:
	s_and_not1_saveexec_b32 s16, s16
	s_delay_alu instid0(SALU_CYCLE_1)
	s_or_b32 exec_lo, exec_lo, s16
.LBB12_13:
	s_delay_alu instid0(SALU_CYCLE_1)
	s_or_b32 exec_lo, exec_lo, s14
.LBB12_14:
	s_delay_alu instid0(SALU_CYCLE_1) | instskip(SKIP_3) | instid1(VALU_DEP_2)
	s_or_b32 exec_lo, exec_lo, s12
	v_bfe_u32 v2, v0, 7, 1
	v_bfe_u32 v11, v0, 5, 2
	s_mov_b32 s12, exec_lo
	v_lshlrev_b32_e32 v6, 6, v2
	v_lshlrev_b32_e32 v7, 5, v2
	s_delay_alu instid0(VALU_DEP_2) | instskip(SKIP_1) | instid1(VALU_DEP_2)
	v_add_co_u32 v9, vcc_lo, v3, v6
	v_add_co_ci_u32_e32 v10, vcc_lo, 0, v4, vcc_lo
	v_sub_co_u32 v3, vcc_lo, v9, v7
	s_delay_alu instid0(VALU_DEP_2) | instskip(NEXT) | instid1(VALU_DEP_2)
	v_subrev_co_ci_u32_e32 v4, vcc_lo, 0, v10, vcc_lo
	v_add_co_u32 v6, vcc_lo, v3, v5
	s_delay_alu instid0(VALU_DEP_2)
	v_add_co_ci_u32_e32 v7, vcc_lo, 0, v4, vcc_lo
	global_load_u8 v8, v[6:7], off offset:128
	v_bfe_u32 v6, v0, 4, 1
                                        ; implicit-def: $vgpr7
	v_cmpx_lt_i32_e32 1, v11
	s_xor_b32 s12, exec_lo, s12
	s_cbranch_execz .LBB12_20
; %bb.15:
	s_mov_b32 s14, exec_lo
                                        ; implicit-def: $vgpr7
	v_cmpx_lt_i32_e32 2, v11
	s_xor_b32 s14, exec_lo, s14
	s_cbranch_execz .LBB12_17
; %bb.16:
	v_add_co_u32 v9, vcc_lo, v9, v5
	v_add_co_ci_u32_e32 v10, vcc_lo, 0, v10, vcc_lo
	s_waitcnt vmcnt(0)
	v_lshrrev_b32_e32 v8, 2, v8
	v_or_b32_e32 v6, 6, v6
	global_load_u8 v7, v[9:10], off offset:32
                                        ; implicit-def: $vgpr9
                                        ; implicit-def: $vgpr10
	s_waitcnt vmcnt(0)
	v_lshrrev_b16 v7, 4, v7
	s_delay_alu instid0(VALU_DEP_1) | instskip(NEXT) | instid1(VALU_DEP_1)
	v_and_b32_e32 v7, 0xffff, v7
	v_and_or_b32 v7, v8, 48, v7
                                        ; implicit-def: $vgpr8
.LBB12_17:
	s_and_not1_saveexec_b32 s14, s14
	s_cbranch_execz .LBB12_19
; %bb.18:
	v_add_co_u32 v9, vcc_lo, v9, v5
	v_add_co_ci_u32_e32 v10, vcc_lo, 0, v10, vcc_lo
	v_or_b32_e32 v6, 4, v6
	global_load_u8 v7, v[9:10], off
	s_waitcnt vmcnt(0)
	v_lshrrev_b16 v7, 4, v7
	s_delay_alu instid0(VALU_DEP_1) | instskip(NEXT) | instid1(VALU_DEP_1)
	v_and_b32_e32 v7, 0xffff, v7
	v_and_or_b32 v7, v8, 48, v7
.LBB12_19:
	s_or_b32 exec_lo, exec_lo, s14
                                        ; implicit-def: $vgpr9
                                        ; implicit-def: $vgpr10
                                        ; implicit-def: $vgpr8
                                        ; implicit-def: $vgpr11
.LBB12_20:
	s_and_not1_saveexec_b32 s12, s12
	s_cbranch_execz .LBB12_26
; %bb.21:
	s_mov_b32 s14, exec_lo
                                        ; implicit-def: $vgpr7
	v_cmpx_ne_u32_e32 1, v11
	s_xor_b32 s14, exec_lo, s14
	s_cbranch_execz .LBB12_23
; %bb.22:
	v_add_co_u32 v9, vcc_lo, v9, v5
	v_add_co_ci_u32_e32 v10, vcc_lo, 0, v10, vcc_lo
	s_waitcnt vmcnt(0)
	v_lshlrev_b32_e32 v8, 4, v8
	global_load_u8 v7, v[9:10], off
                                        ; implicit-def: $vgpr9
                                        ; implicit-def: $vgpr10
	s_waitcnt vmcnt(0)
	v_and_b32_e32 v7, 15, v7
	s_delay_alu instid0(VALU_DEP_1)
	v_and_or_b32 v7, v8, 48, v7
                                        ; implicit-def: $vgpr8
.LBB12_23:
	s_and_not1_saveexec_b32 s14, s14
	s_cbranch_execz .LBB12_25
; %bb.24:
	v_add_co_u32 v9, vcc_lo, v9, v5
	v_add_co_ci_u32_e32 v10, vcc_lo, 0, v10, vcc_lo
	s_waitcnt vmcnt(0)
	v_lshlrev_b32_e32 v8, 2, v8
	v_or_b32_e32 v6, 2, v6
	global_load_u8 v7, v[9:10], off offset:32
	s_waitcnt vmcnt(0)
	v_and_b32_e32 v7, 15, v7
	s_delay_alu instid0(VALU_DEP_1)
	v_and_or_b32 v7, v8, 48, v7
.LBB12_25:
	s_or_b32 exec_lo, exec_lo, s14
.LBB12_26:
	s_delay_alu instid0(SALU_CYCLE_1)
	s_or_b32 exec_lo, exec_lo, s12
	s_waitcnt vmcnt(0)
	v_mul_i32_i24_e32 v8, 0xffffffe8, v2
	v_mul_hi_i32_i24_e32 v2, 0xffffffe8, v2
	s_and_b32 s12, s13, -4
	s_mov_b32 s14, 0
	s_add_u32 s6, s6, s12
	v_add_co_u32 v3, vcc_lo, v3, v8
	v_add_co_ci_u32_e32 v4, vcc_lo, v4, v2, vcc_lo
	s_addc_u32 s7, s7, 0
	s_delay_alu instid0(VALU_DEP_2) | instskip(NEXT) | instid1(VALU_DEP_2)
	v_add_co_u32 v2, vcc_lo, v3, v6
	v_add_co_ci_u32_e32 v3, vcc_lo, 0, v4, vcc_lo
	v_cvt_f32_u32_e32 v4, v7
	s_load_b32 s12, s[0:1], 0x3c
	s_mov_b32 s13, exec_lo
	global_load_i8 v2, v[2:3], off offset:192
	s_waitcnt lgkmcnt(0)
	s_and_b32 s12, s12, 0xffff
	s_waitcnt vmcnt(0)
	v_cvt_f32_i32_e32 v2, v2
	s_delay_alu instid0(VALU_DEP_1) | instskip(NEXT) | instid1(VALU_DEP_1)
	v_dual_add_f32 v4, 0xc2000000, v4 :: v_dual_mul_f32 v1, v1, v2
	v_dual_mul_f32 v2, v4, v1 :: v_dual_lshlrev_b32 v3, 2, v0
	global_load_b32 v3, v3, s[6:7]
	v_add_nc_u32_e32 v1, s12, v0
	s_waitcnt vmcnt(0)
	v_fma_f32 v6, v3, v2, 0
	s_delay_alu instid0(VALU_DEP_2)
	v_cmpx_gt_u32_e64 s11, v1
	s_cbranch_execz .LBB12_52
; %bb.27:
	v_mov_b32_e32 v2, 0
	s_branch .LBB12_30
.LBB12_28:                              ;   in Loop: Header=BB12_30 Depth=1
	s_or_b32 exec_lo, exec_lo, s17
.LBB12_29:                              ;   in Loop: Header=BB12_30 Depth=1
	s_delay_alu instid0(SALU_CYCLE_1) | instskip(SKIP_3) | instid1(VALU_DEP_2)
	s_or_b32 exec_lo, exec_lo, s16
	v_mul_i32_i24_e32 v3, 0xffffffe8, v8
	s_waitcnt vmcnt(0)
	v_mul_hi_i32_i24_e32 v4, 0xffffffe8, v8
	v_add_co_u32 v3, vcc_lo, v9, v3
	s_delay_alu instid0(VALU_DEP_2) | instskip(NEXT) | instid1(VALU_DEP_2)
	v_add_co_ci_u32_e32 v4, vcc_lo, v10, v4, vcc_lo
	v_add_co_u32 v3, vcc_lo, v3, v11
	s_delay_alu instid0(VALU_DEP_2) | instskip(SKIP_3) | instid1(VALU_DEP_2)
	v_add_co_ci_u32_e32 v4, vcc_lo, 0, v4, vcc_lo
	global_load_i8 v8, v[3:4], off offset:192
	v_lshlrev_b64 v[3:4], 2, v[1:2]
	v_add_nc_u32_e32 v1, s12, v1
	v_add_co_u32 v3, vcc_lo, s6, v3
	s_delay_alu instid0(VALU_DEP_3) | instskip(NEXT) | instid1(VALU_DEP_3)
	v_add_co_ci_u32_e32 v4, vcc_lo, s7, v4, vcc_lo
	v_cmp_le_u32_e32 vcc_lo, s11, v1
	global_load_b32 v3, v[3:4], off
	s_or_b32 s14, vcc_lo, s14
	s_waitcnt vmcnt(1)
	v_cvt_f32_i32_e32 v4, v8
	v_cvt_f32_u32_e32 v8, v12
	s_delay_alu instid0(VALU_DEP_2) | instskip(NEXT) | instid1(VALU_DEP_2)
	v_mul_f32_e32 v4, v7, v4
	v_add_f32_e32 v7, 0xc2000000, v8
	s_delay_alu instid0(VALU_DEP_1) | instskip(SKIP_1) | instid1(VALU_DEP_1)
	v_mul_f32_e32 v4, v7, v4
	s_waitcnt vmcnt(0)
	v_fmac_f32_e32 v6, v3, v4
	s_and_not1_b32 exec_lo, exec_lo, s14
	s_cbranch_execz .LBB12_51
.LBB12_30:                              ; =>This Inner Loop Header: Depth=1
	v_lshrrev_b32_e32 v3, 8, v1
	s_mov_b32 s16, exec_lo
	s_delay_alu instid0(VALU_DEP_1) | instskip(SKIP_3) | instid1(VALU_DEP_1)
	v_mul_u32_u24_e32 v3, 0xd2, v3
	global_load_u16 v4, v3, s[4:5] offset:208
	s_waitcnt vmcnt(0)
	v_lshrrev_b16 v7, 8, v4
	v_and_b32_e32 v7, 0xffff, v7
	s_delay_alu instid0(VALU_DEP_1) | instskip(SKIP_2) | instid1(VALU_DEP_3)
	v_lshrrev_b32_e32 v8, 7, v7
	v_bfe_u32 v9, v7, 2, 5
	v_perm_b32 v4, v7, v4, 0x6050400
	v_lshlrev_b32_e32 v7, 31, v8
	s_delay_alu instid0(VALU_DEP_3)
	v_cmpx_lt_i32_e32 30, v9
	s_xor_b32 s16, exec_lo, s16
; %bb.31:                               ;   in Loop: Header=BB12_30 Depth=1
	v_lshlrev_b32_e32 v7, 31, v8
	v_lshlrev_b32_e32 v4, 13, v4
                                        ; implicit-def: $vgpr9
                                        ; implicit-def: $vgpr8
	s_delay_alu instid0(VALU_DEP_1)
	v_or3_b32 v7, v4, v7, 0x7f800000
                                        ; implicit-def: $vgpr4
; %bb.32:                               ;   in Loop: Header=BB12_30 Depth=1
	s_and_not1_saveexec_b32 s16, s16
	s_cbranch_execz .LBB12_40
; %bb.33:                               ;   in Loop: Header=BB12_30 Depth=1
	v_and_b32_e32 v10, 0x3ff, v4
	s_mov_b32 s17, exec_lo
	v_cmpx_ne_u32_e32 0, v9
	s_xor_b32 s17, exec_lo, s17
; %bb.34:                               ;   in Loop: Header=BB12_30 Depth=1
	v_lshlrev_b32_e32 v4, 31, v8
	v_lshlrev_b32_e32 v7, 23, v9
	;; [unrolled: 1-line block ×3, first 2 shown]
                                        ; implicit-def: $vgpr10
	s_delay_alu instid0(VALU_DEP_1) | instskip(NEXT) | instid1(VALU_DEP_1)
	v_or3_b32 v4, v7, v4, v8
                                        ; implicit-def: $vgpr8
	v_add_nc_u32_e32 v7, 0x38000000, v4
                                        ; implicit-def: $vgpr4
; %bb.35:                               ;   in Loop: Header=BB12_30 Depth=1
	s_and_not1_saveexec_b32 s17, s17
	s_cbranch_execz .LBB12_39
; %bb.36:                               ;   in Loop: Header=BB12_30 Depth=1
	s_mov_b32 s18, exec_lo
	v_cmpx_ne_u32_e32 0, v10
	s_xor_b32 s18, exec_lo, s18
; %bb.37:                               ;   in Loop: Header=BB12_30 Depth=1
	v_clz_i32_u32_e32 v7, v10
	v_lshlrev_b32_e32 v8, 31, v8
	s_delay_alu instid0(VALU_DEP_2) | instskip(SKIP_1) | instid1(VALU_DEP_2)
	v_xor_b32_e32 v9, 31, v7
	v_lshlrev_b32_e32 v7, 23, v7
	v_sub_nc_u32_e32 v9, 9, v9
	s_delay_alu instid0(VALU_DEP_1) | instskip(NEXT) | instid1(VALU_DEP_1)
	v_lshlrev_b32_e32 v4, v9, v4
	v_lshlrev_b32_e32 v4, 14, v4
	s_delay_alu instid0(VALU_DEP_1) | instskip(NEXT) | instid1(VALU_DEP_1)
	v_and_or_b32 v4, 0x7fc000, v4, v8
	v_sub_nc_u32_e32 v4, v4, v7
	s_delay_alu instid0(VALU_DEP_1)
	v_add_nc_u32_e32 v7, 0x43000000, v4
; %bb.38:                               ;   in Loop: Header=BB12_30 Depth=1
	s_and_not1_saveexec_b32 s18, s18
	s_delay_alu instid0(SALU_CYCLE_1)
	s_or_b32 exec_lo, exec_lo, s18
.LBB12_39:                              ;   in Loop: Header=BB12_30 Depth=1
	s_delay_alu instid0(SALU_CYCLE_1)
	s_or_b32 exec_lo, exec_lo, s17
.LBB12_40:                              ;   in Loop: Header=BB12_30 Depth=1
	s_delay_alu instid0(SALU_CYCLE_1) | instskip(SKIP_2) | instid1(VALU_DEP_1)
	s_or_b32 exec_lo, exec_lo, s16
	v_bfe_u32 v8, v1, 7, 1
	v_add_co_u32 v3, s16, s4, v3
	v_add_co_ci_u32_e64 v4, null, s5, 0, s16
	s_delay_alu instid0(VALU_DEP_3) | instskip(SKIP_3) | instid1(VALU_DEP_3)
	v_lshlrev_b32_e32 v9, 6, v8
	v_lshlrev_b32_e32 v10, 5, v8
	v_bfe_u32 v15, v1, 5, 2
	s_mov_b32 s16, exec_lo
	v_add_co_u32 v13, vcc_lo, v3, v9
	v_add_co_ci_u32_e32 v14, vcc_lo, 0, v4, vcc_lo
	v_and_b32_e32 v3, 31, v1
	s_delay_alu instid0(VALU_DEP_3) | instskip(NEXT) | instid1(VALU_DEP_3)
	v_sub_co_u32 v9, vcc_lo, v13, v10
	v_subrev_co_ci_u32_e32 v10, vcc_lo, 0, v14, vcc_lo
	s_delay_alu instid0(VALU_DEP_2) | instskip(NEXT) | instid1(VALU_DEP_2)
	v_add_co_u32 v11, vcc_lo, v9, v3
	v_add_co_ci_u32_e32 v12, vcc_lo, 0, v10, vcc_lo
	global_load_u8 v4, v[11:12], off offset:128
	v_bfe_u32 v11, v1, 4, 1
                                        ; implicit-def: $vgpr12
	v_cmpx_lt_i32_e32 1, v15
	s_xor_b32 s16, exec_lo, s16
	s_cbranch_execz .LBB12_46
; %bb.41:                               ;   in Loop: Header=BB12_30 Depth=1
	s_mov_b32 s17, exec_lo
                                        ; implicit-def: $vgpr12
	v_cmpx_lt_i32_e32 2, v15
	s_xor_b32 s17, exec_lo, s17
	s_cbranch_execz .LBB12_43
; %bb.42:                               ;   in Loop: Header=BB12_30 Depth=1
	v_add_co_u32 v12, vcc_lo, v13, v3
	v_add_co_ci_u32_e32 v13, vcc_lo, 0, v14, vcc_lo
	s_waitcnt vmcnt(0)
	v_lshrrev_b32_e32 v4, 2, v4
	v_or_b32_e32 v11, 6, v11
                                        ; implicit-def: $vgpr14
	global_load_u8 v3, v[12:13], off offset:32
                                        ; implicit-def: $vgpr13
	s_waitcnt vmcnt(0)
	v_lshrrev_b16 v3, 4, v3
	s_delay_alu instid0(VALU_DEP_1) | instskip(NEXT) | instid1(VALU_DEP_1)
	v_and_b32_e32 v3, 0xffff, v3
	v_and_or_b32 v12, v4, 48, v3
                                        ; implicit-def: $vgpr3_vgpr4
                                        ; implicit-def: $vgpr4
.LBB12_43:                              ;   in Loop: Header=BB12_30 Depth=1
	s_and_not1_saveexec_b32 s17, s17
	s_cbranch_execz .LBB12_45
; %bb.44:                               ;   in Loop: Header=BB12_30 Depth=1
	v_add_co_u32 v12, vcc_lo, v13, v3
	v_add_co_ci_u32_e32 v13, vcc_lo, 0, v14, vcc_lo
	v_or_b32_e32 v11, 4, v11
	global_load_u8 v3, v[12:13], off
	s_waitcnt vmcnt(0)
	v_lshrrev_b16 v3, 4, v3
	s_delay_alu instid0(VALU_DEP_1) | instskip(NEXT) | instid1(VALU_DEP_1)
	v_and_b32_e32 v3, 0xffff, v3
	v_and_or_b32 v12, v4, 48, v3
.LBB12_45:                              ;   in Loop: Header=BB12_30 Depth=1
	s_or_b32 exec_lo, exec_lo, s17
                                        ; implicit-def: $vgpr3_vgpr4
                                        ; implicit-def: $vgpr13
                                        ; implicit-def: $vgpr14
                                        ; implicit-def: $vgpr15
                                        ; implicit-def: $vgpr4
.LBB12_46:                              ;   in Loop: Header=BB12_30 Depth=1
	s_and_not1_saveexec_b32 s16, s16
	s_cbranch_execz .LBB12_29
; %bb.47:                               ;   in Loop: Header=BB12_30 Depth=1
	s_mov_b32 s17, exec_lo
                                        ; implicit-def: $vgpr12
	v_cmpx_ne_u32_e32 1, v15
	s_xor_b32 s17, exec_lo, s17
	s_cbranch_execz .LBB12_49
; %bb.48:                               ;   in Loop: Header=BB12_30 Depth=1
	v_add_co_u32 v12, vcc_lo, v13, v3
	v_add_co_ci_u32_e32 v13, vcc_lo, 0, v14, vcc_lo
	s_waitcnt vmcnt(0)
	v_lshlrev_b32_e32 v4, 4, v4
                                        ; implicit-def: $vgpr14
	global_load_u8 v3, v[12:13], off
                                        ; implicit-def: $vgpr13
	s_waitcnt vmcnt(0)
	v_and_b32_e32 v3, 15, v3
	s_delay_alu instid0(VALU_DEP_1)
	v_and_or_b32 v12, v4, 48, v3
                                        ; implicit-def: $vgpr3_vgpr4
                                        ; implicit-def: $vgpr4
.LBB12_49:                              ;   in Loop: Header=BB12_30 Depth=1
	s_and_not1_saveexec_b32 s17, s17
	s_cbranch_execz .LBB12_28
; %bb.50:                               ;   in Loop: Header=BB12_30 Depth=1
	v_add_co_u32 v12, vcc_lo, v13, v3
	v_add_co_ci_u32_e32 v13, vcc_lo, 0, v14, vcc_lo
	s_waitcnt vmcnt(0)
	v_lshlrev_b32_e32 v4, 2, v4
	v_or_b32_e32 v11, 2, v11
	global_load_u8 v3, v[12:13], off offset:32
	s_waitcnt vmcnt(0)
	v_and_b32_e32 v3, 15, v3
	s_delay_alu instid0(VALU_DEP_1)
	v_and_or_b32 v12, v4, 48, v3
	s_branch .LBB12_28
.LBB12_51:
	s_or_b32 exec_lo, exec_lo, s14
.LBB12_52:
	s_delay_alu instid0(SALU_CYCLE_1)
	s_or_b32 exec_lo, exec_lo, s13
.LBB12_53:
	s_delay_alu instid0(SALU_CYCLE_1) | instskip(SKIP_3) | instid1(VALU_DEP_1)
	s_or_b32 exec_lo, exec_lo, s10
	v_mbcnt_lo_u32_b32 v4, -1, 0
	s_waitcnt lgkmcnt(0)
	s_mov_b32 s4, exec_lo
	v_cmp_gt_u32_e32 vcc_lo, 16, v4
	v_cndmask_b32_e64 v1, 0, 1, vcc_lo
	v_cmp_gt_u32_e32 vcc_lo, 24, v4
	s_delay_alu instid0(VALU_DEP_2) | instskip(SKIP_2) | instid1(VALU_DEP_3)
	v_lshlrev_b32_e32 v1, 4, v1
	v_cndmask_b32_e64 v2, 0, 1, vcc_lo
	v_cmp_gt_u32_e32 vcc_lo, 28, v4
	v_add_lshl_u32 v1, v1, v4, 2
	ds_bpermute_b32 v3, v1, v6
	s_waitcnt lgkmcnt(0)
	v_add_f32_e32 v6, v6, v3
	v_lshlrev_b32_e32 v2, 3, v2
	v_cndmask_b32_e64 v3, 0, 1, vcc_lo
	v_cmp_gt_u32_e32 vcc_lo, 30, v4
	s_delay_alu instid0(VALU_DEP_3) | instskip(NEXT) | instid1(VALU_DEP_3)
	v_add_lshl_u32 v2, v2, v4, 2
	v_lshlrev_b32_e32 v3, 2, v3
	ds_bpermute_b32 v7, v2, v6
	v_add_lshl_u32 v3, v3, v4, 2
	s_waitcnt lgkmcnt(0)
	v_add_f32_e32 v7, v6, v7
	v_cndmask_b32_e64 v6, 0, 1, vcc_lo
	v_cmp_ne_u32_e32 vcc_lo, 31, v4
	ds_bpermute_b32 v8, v3, v7
	v_lshlrev_b32_e32 v6, 1, v6
	v_add_co_ci_u32_e32 v9, vcc_lo, 0, v4, vcc_lo
	s_waitcnt lgkmcnt(0)
	v_add_f32_e32 v7, v7, v8
	s_delay_alu instid0(VALU_DEP_3)
	v_add_lshl_u32 v6, v6, v4, 2
	ds_bpermute_b32 v8, v6, v7
	s_waitcnt lgkmcnt(0)
	v_dual_add_f32 v4, v7, v8 :: v_dual_lshlrev_b32 v7, 2, v9
	ds_bpermute_b32 v8, v7, v4
	v_cmpx_eq_u32_e32 0, v5
	s_cbranch_execz .LBB12_55
; %bb.54:
	s_waitcnt lgkmcnt(0)
	v_add_f32_e32 v4, v4, v8
	v_lshrrev_b32_e32 v8, 3, v0
	ds_store_b32 v8, v4
.LBB12_55:
	s_or_b32 exec_lo, exec_lo, s4
	s_waitcnt lgkmcnt(0)
	s_barrier
	buffer_gl0_inv
	s_load_b32 s0, s[0:1], 0x3c
	v_mov_b32_e32 v4, 0
	s_waitcnt lgkmcnt(0)
	s_and_b32 s0, s0, 0xffff
	s_delay_alu instid0(SALU_CYCLE_1) | instskip(NEXT) | instid1(SALU_CYCLE_1)
	s_add_i32 s0, s0, 31
	s_lshr_b32 s0, s0, 5
	s_delay_alu instid0(SALU_CYCLE_1)
	v_cmp_gt_u32_e32 vcc_lo, s0, v0
	s_and_saveexec_b32 s0, vcc_lo
	s_cbranch_execz .LBB12_57
; %bb.56:
	v_lshlrev_b32_e32 v4, 2, v5
	ds_load_b32 v4, v4
.LBB12_57:
	s_or_b32 exec_lo, exec_lo, s0
	s_delay_alu instid0(SALU_CYCLE_1)
	s_mov_b32 s0, exec_lo
	v_cmpx_gt_u32_e32 32, v0
	s_cbranch_execz .LBB12_59
; %bb.58:
	s_waitcnt lgkmcnt(0)
	ds_bpermute_b32 v1, v1, v4
	s_waitcnt lgkmcnt(0)
	v_add_f32_e32 v1, v4, v1
	ds_bpermute_b32 v2, v2, v1
	s_waitcnt lgkmcnt(0)
	v_add_f32_e32 v1, v1, v2
	;; [unrolled: 3-line block ×5, first 2 shown]
.LBB12_59:
	s_or_b32 exec_lo, exec_lo, s0
	s_mov_b32 s1, 0
	s_mov_b32 s0, exec_lo
	v_cmpx_eq_u32_e32 0, v0
	s_cbranch_execz .LBB12_63
; %bb.60:
	s_lshr_b32 s0, s8, 2
	s_delay_alu instid0(SALU_CYCLE_1) | instskip(NEXT) | instid1(SALU_CYCLE_1)
	s_add_i32 s0, s0, s15
	s_lshl_b64 s[0:1], s[0:1], 2
	s_delay_alu instid0(SALU_CYCLE_1)
	s_add_u32 s0, s2, s0
	s_addc_u32 s1, s3, s1
	s_cmp_eq_u32 s9, 0
	s_cbranch_scc1 .LBB12_62
; %bb.61:
	s_load_b32 s2, s[0:1], 0x0
	s_waitcnt lgkmcnt(0)
	v_add_f32_e32 v4, s2, v4
.LBB12_62:
	v_mov_b32_e32 v0, 0
	s_waitcnt lgkmcnt(0)
	global_store_b32 v0, v4, s[0:1]
.LBB12_63:
	s_nop 0
	s_sendmsg sendmsg(MSG_DEALLOC_VGPRS)
	s_endpgm
	.section	.rodata,"a",@progbits
	.p2align	6, 0x0
	.amdhsa_kernel dmmv_q6k
		.amdhsa_group_segment_fixed_size 128
		.amdhsa_private_segment_fixed_size 0
		.amdhsa_kernarg_size 304
		.amdhsa_user_sgpr_count 15
		.amdhsa_user_sgpr_dispatch_ptr 0
		.amdhsa_user_sgpr_queue_ptr 0
		.amdhsa_user_sgpr_kernarg_segment_ptr 1
		.amdhsa_user_sgpr_dispatch_id 0
		.amdhsa_user_sgpr_private_segment_size 0
		.amdhsa_wavefront_size32 1
		.amdhsa_uses_dynamic_stack 0
		.amdhsa_enable_private_segment 0
		.amdhsa_system_sgpr_workgroup_id_x 1
		.amdhsa_system_sgpr_workgroup_id_y 0
		.amdhsa_system_sgpr_workgroup_id_z 0
		.amdhsa_system_sgpr_workgroup_info 0
		.amdhsa_system_vgpr_workitem_id 0
		.amdhsa_next_free_vgpr 16
		.amdhsa_next_free_sgpr 19
		.amdhsa_reserve_vcc 1
		.amdhsa_float_round_mode_32 0
		.amdhsa_float_round_mode_16_64 0
		.amdhsa_float_denorm_mode_32 3
		.amdhsa_float_denorm_mode_16_64 3
		.amdhsa_dx10_clamp 1
		.amdhsa_ieee_mode 1
		.amdhsa_fp16_overflow 0
		.amdhsa_workgroup_processor_mode 1
		.amdhsa_memory_ordered 1
		.amdhsa_forward_progress 0
		.amdhsa_shared_vgpr_count 0
		.amdhsa_exception_fp_ieee_invalid_op 0
		.amdhsa_exception_fp_denorm_src 0
		.amdhsa_exception_fp_ieee_div_zero 0
		.amdhsa_exception_fp_ieee_overflow 0
		.amdhsa_exception_fp_ieee_underflow 0
		.amdhsa_exception_fp_ieee_inexact 0
		.amdhsa_exception_int_div_zero 0
	.end_amdhsa_kernel
	.text
.Lfunc_end12:
	.size	dmmv_q6k, .Lfunc_end12-dmmv_q6k
                                        ; -- End function
	.section	.AMDGPU.csdata,"",@progbits
; Kernel info:
; codeLenInByte = 2460
; NumSgprs: 21
; NumVgprs: 16
; ScratchSize: 0
; MemoryBound: 0
; FloatMode: 240
; IeeeMode: 1
; LDSByteSize: 128 bytes/workgroup (compile time only)
; SGPRBlocks: 2
; VGPRBlocks: 1
; NumSGPRsForWavesPerEU: 21
; NumVGPRsForWavesPerEU: 16
; Occupancy: 16
; WaveLimiterHint : 0
; COMPUTE_PGM_RSRC2:SCRATCH_EN: 0
; COMPUTE_PGM_RSRC2:USER_SGPR: 15
; COMPUTE_PGM_RSRC2:TRAP_HANDLER: 0
; COMPUTE_PGM_RSRC2:TGID_X_EN: 1
; COMPUTE_PGM_RSRC2:TGID_Y_EN: 0
; COMPUTE_PGM_RSRC2:TGID_Z_EN: 0
; COMPUTE_PGM_RSRC2:TIDIG_COMP_CNT: 0
	.text
	.protected	softmax_topk            ; -- Begin function softmax_topk
	.globl	softmax_topk
	.p2align	8
	.type	softmax_topk,@function
softmax_topk:                           ; @softmax_topk
; %bb.0:
	s_clause 0x1
	s_load_b64 s[2:3], s[0:1], 0x10
	s_load_b128 s[4:7], s[0:1], 0x0
	v_lshlrev_b32_e32 v3, 2, v0
	s_waitcnt lgkmcnt(0)
	v_cmp_gt_u32_e32 vcc_lo, s2, v0
	s_and_saveexec_b32 s1, vcc_lo
	s_cbranch_execz .LBB13_3
; %bb.1:
	v_dual_mov_b32 v1, v0 :: v_dual_lshlrev_b32 v4, 2, v0
	v_mov_b32_e32 v2, 0
	s_mov_b32 s8, 0
	.p2align	6
.LBB13_2:                               ; =>This Inner Loop Header: Depth=1
	s_delay_alu instid0(VALU_DEP_1) | instskip(SKIP_1) | instid1(VALU_DEP_2)
	v_lshlrev_b64 v[5:6], 2, v[1:2]
	v_add_nc_u32_e32 v1, 64, v1
	v_add_co_u32 v5, s0, s4, v5
	s_delay_alu instid0(VALU_DEP_1) | instskip(NEXT) | instid1(VALU_DEP_3)
	v_add_co_ci_u32_e64 v6, s0, s5, v6, s0
	v_cmp_le_u32_e64 s0, s2, v1
	global_load_b32 v5, v[5:6], off
	s_or_b32 s8, s0, s8
	s_waitcnt vmcnt(0)
	ds_store_b32 v4, v5
	v_add_nc_u32_e32 v4, 0x100, v4
	s_and_not1_b32 exec_lo, exec_lo, s8
	s_cbranch_execnz .LBB13_2
.LBB13_3:
	s_or_b32 exec_lo, exec_lo, s1
	v_cmp_eq_u32_e64 s0, 0, v0
	s_cmp_lg_u32 s3, 0
	s_mov_b32 s5, 0
	s_cselect_b32 s8, -1, 0
	s_cmp_eq_u32 s3, 0
	s_waitcnt lgkmcnt(0)
	s_barrier
	buffer_gl0_inv
	s_cbranch_scc1 .LBB13_12
; %bb.4:
	v_dual_mov_b32 v4, 0 :: v_dual_add_nc_u32 v1, 0x500, v3
	v_add_nc_u32_e32 v2, 0x400, v3
	v_mov_b32_e32 v5, 0xff800000
	s_mov_b32 s4, s5
	s_branch .LBB13_6
.LBB13_5:                               ;   in Loop: Header=BB13_6 Depth=1
	s_or_b32 exec_lo, exec_lo, s9
	s_add_i32 s4, s4, 1
	s_waitcnt lgkmcnt(0)
	s_waitcnt_vscnt null, 0x0
	s_cmp_eq_u32 s4, s3
	s_barrier
	buffer_gl0_inv
	s_cbranch_scc1 .LBB13_12
.LBB13_6:                               ; =>This Loop Header: Depth=1
                                        ;     Child Loop BB13_8 Depth 2
	v_dual_mov_b32 v6, 0 :: v_dual_mov_b32 v7, 0xff800000
	s_and_saveexec_b32 s9, vcc_lo
	s_cbranch_execz .LBB13_10
; %bb.7:                                ;   in Loop: Header=BB13_6 Depth=1
	v_dual_mov_b32 v6, 0 :: v_dual_mov_b32 v7, 0xff800000
	v_dual_mov_b32 v8, v3 :: v_dual_mov_b32 v9, v0
	s_mov_b32 s10, 0
.LBB13_8:                               ;   Parent Loop BB13_6 Depth=1
                                        ; =>  This Inner Loop Header: Depth=2
	ds_load_b32 v10, v8
	v_add_nc_u32_e32 v8, 0x100, v8
	s_waitcnt lgkmcnt(0)
	v_cmp_gt_f32_e64 s1, v10, v7
	s_delay_alu instid0(VALU_DEP_1) | instskip(SKIP_2) | instid1(VALU_DEP_2)
	v_cndmask_b32_e64 v6, v6, v9, s1
	v_add_nc_u32_e32 v9, 64, v9
	v_cndmask_b32_e64 v7, v7, v10, s1
	v_cmp_le_u32_e64 s1, s2, v9
	s_delay_alu instid0(VALU_DEP_1) | instskip(NEXT) | instid1(SALU_CYCLE_1)
	s_or_b32 s10, s1, s10
	s_and_not1_b32 exec_lo, exec_lo, s10
	s_cbranch_execnz .LBB13_8
; %bb.9:                                ;   in Loop: Header=BB13_6 Depth=1
	s_or_b32 exec_lo, exec_lo, s10
.LBB13_10:                              ;   in Loop: Header=BB13_6 Depth=1
	s_delay_alu instid0(SALU_CYCLE_1)
	s_or_b32 exec_lo, exec_lo, s9
	ds_store_b32 v1, v7
	ds_store_b32 v2, v6
	s_waitcnt lgkmcnt(0)
	s_barrier
	buffer_gl0_inv
	s_and_saveexec_b32 s9, s0
	s_cbranch_execz .LBB13_5
; %bb.11:                               ;   in Loop: Header=BB13_6 Depth=1
	ds_load_b128 v[6:9], v4 offset:1280
	ds_load_b128 v[10:13], v4 offset:1024
	;; [unrolled: 1-line block ×4, first 2 shown]
	s_lshl_b64 s[10:11], s[4:5], 2
	s_mov_b32 s13, s5
	s_add_u32 s10, s6, s10
	s_addc_u32 s11, s7, s11
	s_add_i32 s12, s4, s3
	s_delay_alu instid0(SALU_CYCLE_1) | instskip(NEXT) | instid1(SALU_CYCLE_1)
	s_lshl_b64 s[12:13], s[12:13], 2
	s_add_u32 s12, s6, s12
	s_addc_u32 s13, s7, s13
	s_waitcnt lgkmcnt(3)
	v_cmp_nlg_f32_e64 s1, 0xff800000, v6
	s_delay_alu instid0(VALU_DEP_1) | instskip(SKIP_2) | instid1(VALU_DEP_2)
	v_cndmask_b32_e64 v6, v6, 0xff800000, s1
	s_waitcnt lgkmcnt(2)
	v_cndmask_b32_e64 v10, v10, 0, s1
	v_cmp_gt_f32_e64 s1, v7, v6
	s_delay_alu instid0(VALU_DEP_1) | instskip(NEXT) | instid1(VALU_DEP_3)
	v_cndmask_b32_e64 v6, v6, v7, s1
	v_cndmask_b32_e64 v7, v10, v11, s1
	s_delay_alu instid0(VALU_DEP_2) | instskip(NEXT) | instid1(VALU_DEP_1)
	v_cmp_gt_f32_e64 s1, v8, v6
	v_cndmask_b32_e64 v6, v6, v8, s1
	s_delay_alu instid0(VALU_DEP_3) | instskip(NEXT) | instid1(VALU_DEP_2)
	v_cndmask_b32_e64 v7, v7, v12, s1
	v_cmp_gt_f32_e64 s1, v9, v6
	s_delay_alu instid0(VALU_DEP_1) | instskip(NEXT) | instid1(VALU_DEP_3)
	v_cndmask_b32_e64 v6, v6, v9, s1
	v_cndmask_b32_e64 v10, v7, v13, s1
	s_waitcnt lgkmcnt(1)
	s_delay_alu instid0(VALU_DEP_2) | instskip(NEXT) | instid1(VALU_DEP_1)
	v_cmp_gt_f32_e64 s1, v14, v6
	v_cndmask_b32_e64 v11, v6, v14, s1
	ds_load_b128 v[6:9], v4 offset:1312
	s_waitcnt lgkmcnt(1)
	v_cndmask_b32_e64 v14, v10, v18, s1
	v_cmp_gt_f32_e64 s1, v15, v11
	s_delay_alu instid0(VALU_DEP_1) | instskip(NEXT) | instid1(VALU_DEP_3)
	v_cndmask_b32_e64 v15, v11, v15, s1
	v_cndmask_b32_e64 v14, v14, v19, s1
	ds_load_b128 v[10:13], v4 offset:1056
	v_cmp_gt_f32_e64 s1, v16, v15
	s_delay_alu instid0(VALU_DEP_1) | instskip(SKIP_1) | instid1(VALU_DEP_2)
	v_cndmask_b32_e64 v15, v15, v16, s1
	v_cndmask_b32_e64 v18, v14, v20, s1
	v_cmp_gt_f32_e64 s1, v17, v15
	s_delay_alu instid0(VALU_DEP_1) | instskip(NEXT) | instid1(VALU_DEP_3)
	v_cndmask_b32_e64 v19, v15, v17, s1
	v_cndmask_b32_e64 v22, v18, v21, s1
	ds_load_b128 v[14:17], v4 offset:1328
	s_waitcnt lgkmcnt(2)
	v_cmp_gt_f32_e64 s1, v6, v19
	s_delay_alu instid0(VALU_DEP_1) | instskip(SKIP_4) | instid1(VALU_DEP_1)
	v_cndmask_b32_e64 v6, v19, v6, s1
	ds_load_b128 v[18:21], v4 offset:1072
	s_waitcnt lgkmcnt(2)
	v_cndmask_b32_e64 v10, v22, v10, s1
	v_cmp_gt_f32_e64 s1, v7, v6
	v_cndmask_b32_e64 v6, v6, v7, s1
	s_delay_alu instid0(VALU_DEP_3) | instskip(NEXT) | instid1(VALU_DEP_2)
	v_cndmask_b32_e64 v7, v10, v11, s1
	v_cmp_gt_f32_e64 s1, v8, v6
	s_delay_alu instid0(VALU_DEP_1) | instskip(NEXT) | instid1(VALU_DEP_3)
	v_cndmask_b32_e64 v6, v6, v8, s1
	v_cndmask_b32_e64 v7, v7, v12, s1
	s_delay_alu instid0(VALU_DEP_2) | instskip(NEXT) | instid1(VALU_DEP_1)
	v_cmp_gt_f32_e64 s1, v9, v6
	v_cndmask_b32_e64 v6, v6, v9, s1
	s_delay_alu instid0(VALU_DEP_3) | instskip(SKIP_1) | instid1(VALU_DEP_2)
	v_cndmask_b32_e64 v10, v7, v13, s1
	s_waitcnt lgkmcnt(1)
	v_cmp_gt_f32_e64 s1, v14, v6
	s_delay_alu instid0(VALU_DEP_1) | instskip(SKIP_4) | instid1(VALU_DEP_1)
	v_cndmask_b32_e64 v11, v6, v14, s1
	s_waitcnt lgkmcnt(0)
	v_cndmask_b32_e64 v14, v10, v18, s1
	ds_load_b128 v[6:9], v4 offset:1344
	v_cmp_gt_f32_e64 s1, v15, v11
	v_cndmask_b32_e64 v15, v11, v15, s1
	v_cndmask_b32_e64 v14, v14, v19, s1
	ds_load_b128 v[10:13], v4 offset:1088
	v_cmp_gt_f32_e64 s1, v16, v15
	s_delay_alu instid0(VALU_DEP_1) | instskip(SKIP_1) | instid1(VALU_DEP_2)
	v_cndmask_b32_e64 v15, v15, v16, s1
	v_cndmask_b32_e64 v18, v14, v20, s1
	v_cmp_gt_f32_e64 s1, v17, v15
	s_delay_alu instid0(VALU_DEP_1) | instskip(SKIP_4) | instid1(VALU_DEP_1)
	v_cndmask_b32_e64 v19, v15, v17, s1
	ds_load_b128 v[14:17], v4 offset:1360
	v_cndmask_b32_e64 v22, v18, v21, s1
	s_waitcnt lgkmcnt(2)
	v_cmp_gt_f32_e64 s1, v6, v19
	v_cndmask_b32_e64 v6, v19, v6, s1
	ds_load_b128 v[18:21], v4 offset:1104
	s_waitcnt lgkmcnt(2)
	v_cndmask_b32_e64 v10, v22, v10, s1
	v_cmp_gt_f32_e64 s1, v7, v6
	s_delay_alu instid0(VALU_DEP_1) | instskip(NEXT) | instid1(VALU_DEP_3)
	v_cndmask_b32_e64 v6, v6, v7, s1
	v_cndmask_b32_e64 v7, v10, v11, s1
	s_delay_alu instid0(VALU_DEP_2) | instskip(NEXT) | instid1(VALU_DEP_1)
	v_cmp_gt_f32_e64 s1, v8, v6
	v_cndmask_b32_e64 v6, v6, v8, s1
	s_delay_alu instid0(VALU_DEP_3) | instskip(NEXT) | instid1(VALU_DEP_2)
	v_cndmask_b32_e64 v7, v7, v12, s1
	v_cmp_gt_f32_e64 s1, v9, v6
	s_delay_alu instid0(VALU_DEP_1) | instskip(NEXT) | instid1(VALU_DEP_3)
	v_cndmask_b32_e64 v6, v6, v9, s1
	v_cndmask_b32_e64 v10, v7, v13, s1
	s_waitcnt lgkmcnt(1)
	s_delay_alu instid0(VALU_DEP_2) | instskip(NEXT) | instid1(VALU_DEP_1)
	v_cmp_gt_f32_e64 s1, v14, v6
	v_cndmask_b32_e64 v11, v6, v14, s1
	s_waitcnt lgkmcnt(0)
	v_cndmask_b32_e64 v14, v10, v18, s1
	ds_load_b128 v[6:9], v4 offset:1376
	v_cmp_gt_f32_e64 s1, v15, v11
	s_delay_alu instid0(VALU_DEP_1) | instskip(SKIP_3) | instid1(VALU_DEP_1)
	v_cndmask_b32_e64 v15, v11, v15, s1
	v_cndmask_b32_e64 v14, v14, v19, s1
	ds_load_b128 v[10:13], v4 offset:1120
	v_cmp_gt_f32_e64 s1, v16, v15
	v_cndmask_b32_e64 v15, v15, v16, s1
	v_cndmask_b32_e64 v18, v14, v20, s1
	s_delay_alu instid0(VALU_DEP_2) | instskip(NEXT) | instid1(VALU_DEP_1)
	v_cmp_gt_f32_e64 s1, v17, v15
	v_cndmask_b32_e64 v19, v15, v17, s1
	ds_load_b128 v[14:17], v4 offset:1392
	v_cndmask_b32_e64 v22, v18, v21, s1
	s_waitcnt lgkmcnt(2)
	v_cmp_gt_f32_e64 s1, v6, v19
	s_delay_alu instid0(VALU_DEP_1) | instskip(SKIP_4) | instid1(VALU_DEP_1)
	v_cndmask_b32_e64 v6, v19, v6, s1
	ds_load_b128 v[18:21], v4 offset:1136
	s_waitcnt lgkmcnt(2)
	v_cndmask_b32_e64 v10, v22, v10, s1
	v_cmp_gt_f32_e64 s1, v7, v6
	v_cndmask_b32_e64 v6, v6, v7, s1
	s_delay_alu instid0(VALU_DEP_3) | instskip(NEXT) | instid1(VALU_DEP_2)
	v_cndmask_b32_e64 v7, v10, v11, s1
	v_cmp_gt_f32_e64 s1, v8, v6
	s_delay_alu instid0(VALU_DEP_1) | instskip(NEXT) | instid1(VALU_DEP_3)
	v_cndmask_b32_e64 v6, v6, v8, s1
	v_cndmask_b32_e64 v7, v7, v12, s1
	s_delay_alu instid0(VALU_DEP_2) | instskip(NEXT) | instid1(VALU_DEP_1)
	v_cmp_gt_f32_e64 s1, v9, v6
	v_cndmask_b32_e64 v6, v6, v9, s1
	s_delay_alu instid0(VALU_DEP_3) | instskip(SKIP_1) | instid1(VALU_DEP_2)
	v_cndmask_b32_e64 v10, v7, v13, s1
	s_waitcnt lgkmcnt(1)
	v_cmp_gt_f32_e64 s1, v14, v6
	s_delay_alu instid0(VALU_DEP_1) | instskip(SKIP_4) | instid1(VALU_DEP_1)
	v_cndmask_b32_e64 v11, v6, v14, s1
	s_waitcnt lgkmcnt(0)
	v_cndmask_b32_e64 v14, v10, v18, s1
	ds_load_b128 v[6:9], v4 offset:1408
	v_cmp_gt_f32_e64 s1, v15, v11
	v_cndmask_b32_e64 v15, v11, v15, s1
	v_cndmask_b32_e64 v14, v14, v19, s1
	ds_load_b128 v[10:13], v4 offset:1152
	v_cmp_gt_f32_e64 s1, v16, v15
	s_delay_alu instid0(VALU_DEP_1) | instskip(SKIP_1) | instid1(VALU_DEP_2)
	v_cndmask_b32_e64 v15, v15, v16, s1
	v_cndmask_b32_e64 v18, v14, v20, s1
	v_cmp_gt_f32_e64 s1, v17, v15
	s_delay_alu instid0(VALU_DEP_1) | instskip(SKIP_4) | instid1(VALU_DEP_1)
	v_cndmask_b32_e64 v19, v15, v17, s1
	ds_load_b128 v[14:17], v4 offset:1424
	v_cndmask_b32_e64 v22, v18, v21, s1
	s_waitcnt lgkmcnt(2)
	v_cmp_gt_f32_e64 s1, v6, v19
	v_cndmask_b32_e64 v6, v19, v6, s1
	ds_load_b128 v[18:21], v4 offset:1168
	s_waitcnt lgkmcnt(2)
	v_cndmask_b32_e64 v10, v22, v10, s1
	v_cmp_gt_f32_e64 s1, v7, v6
	s_delay_alu instid0(VALU_DEP_1) | instskip(NEXT) | instid1(VALU_DEP_3)
	v_cndmask_b32_e64 v6, v6, v7, s1
	v_cndmask_b32_e64 v7, v10, v11, s1
	s_delay_alu instid0(VALU_DEP_2) | instskip(NEXT) | instid1(VALU_DEP_1)
	v_cmp_gt_f32_e64 s1, v8, v6
	v_cndmask_b32_e64 v6, v6, v8, s1
	s_delay_alu instid0(VALU_DEP_3) | instskip(NEXT) | instid1(VALU_DEP_2)
	v_cndmask_b32_e64 v7, v7, v12, s1
	v_cmp_gt_f32_e64 s1, v9, v6
	s_delay_alu instid0(VALU_DEP_1) | instskip(NEXT) | instid1(VALU_DEP_3)
	v_cndmask_b32_e64 v6, v6, v9, s1
	v_cndmask_b32_e64 v10, v7, v13, s1
	s_waitcnt lgkmcnt(1)
	s_delay_alu instid0(VALU_DEP_2) | instskip(NEXT) | instid1(VALU_DEP_1)
	v_cmp_gt_f32_e64 s1, v14, v6
	v_cndmask_b32_e64 v11, v6, v14, s1
	s_waitcnt lgkmcnt(0)
	v_cndmask_b32_e64 v14, v10, v18, s1
	ds_load_b128 v[6:9], v4 offset:1440
	v_cmp_gt_f32_e64 s1, v15, v11
	s_delay_alu instid0(VALU_DEP_1) | instskip(SKIP_3) | instid1(VALU_DEP_1)
	v_cndmask_b32_e64 v15, v11, v15, s1
	v_cndmask_b32_e64 v14, v14, v19, s1
	ds_load_b128 v[10:13], v4 offset:1184
	v_cmp_gt_f32_e64 s1, v16, v15
	v_cndmask_b32_e64 v15, v15, v16, s1
	v_cndmask_b32_e64 v18, v14, v20, s1
	s_delay_alu instid0(VALU_DEP_2) | instskip(NEXT) | instid1(VALU_DEP_1)
	v_cmp_gt_f32_e64 s1, v17, v15
	v_cndmask_b32_e64 v19, v15, v17, s1
	ds_load_b128 v[14:17], v4 offset:1456
	v_cndmask_b32_e64 v22, v18, v21, s1
	s_waitcnt lgkmcnt(2)
	v_cmp_gt_f32_e64 s1, v6, v19
	s_delay_alu instid0(VALU_DEP_1) | instskip(SKIP_4) | instid1(VALU_DEP_1)
	v_cndmask_b32_e64 v6, v19, v6, s1
	ds_load_b128 v[18:21], v4 offset:1200
	s_waitcnt lgkmcnt(2)
	v_cndmask_b32_e64 v10, v22, v10, s1
	v_cmp_gt_f32_e64 s1, v7, v6
	v_cndmask_b32_e64 v6, v6, v7, s1
	s_delay_alu instid0(VALU_DEP_3) | instskip(NEXT) | instid1(VALU_DEP_2)
	v_cndmask_b32_e64 v7, v10, v11, s1
	v_cmp_gt_f32_e64 s1, v8, v6
	s_delay_alu instid0(VALU_DEP_1) | instskip(NEXT) | instid1(VALU_DEP_3)
	v_cndmask_b32_e64 v6, v6, v8, s1
	v_cndmask_b32_e64 v7, v7, v12, s1
	s_delay_alu instid0(VALU_DEP_2) | instskip(NEXT) | instid1(VALU_DEP_1)
	v_cmp_gt_f32_e64 s1, v9, v6
	v_cndmask_b32_e64 v6, v6, v9, s1
	s_delay_alu instid0(VALU_DEP_3) | instskip(SKIP_1) | instid1(VALU_DEP_2)
	v_cndmask_b32_e64 v10, v7, v13, s1
	s_waitcnt lgkmcnt(1)
	v_cmp_gt_f32_e64 s1, v14, v6
	s_delay_alu instid0(VALU_DEP_1) | instskip(SKIP_4) | instid1(VALU_DEP_1)
	v_cndmask_b32_e64 v11, v6, v14, s1
	s_waitcnt lgkmcnt(0)
	v_cndmask_b32_e64 v14, v10, v18, s1
	ds_load_b128 v[6:9], v4 offset:1472
	v_cmp_gt_f32_e64 s1, v15, v11
	v_cndmask_b32_e64 v15, v11, v15, s1
	v_cndmask_b32_e64 v14, v14, v19, s1
	ds_load_b128 v[10:13], v4 offset:1216
	v_cmp_gt_f32_e64 s1, v16, v15
	s_delay_alu instid0(VALU_DEP_1) | instskip(SKIP_1) | instid1(VALU_DEP_2)
	v_cndmask_b32_e64 v15, v15, v16, s1
	v_cndmask_b32_e64 v18, v14, v20, s1
	v_cmp_gt_f32_e64 s1, v17, v15
	s_delay_alu instid0(VALU_DEP_1) | instskip(SKIP_4) | instid1(VALU_DEP_1)
	v_cndmask_b32_e64 v19, v15, v17, s1
	ds_load_b128 v[14:17], v4 offset:1488
	v_cndmask_b32_e64 v22, v18, v21, s1
	s_waitcnt lgkmcnt(2)
	v_cmp_gt_f32_e64 s1, v6, v19
	v_cndmask_b32_e64 v6, v19, v6, s1
	ds_load_b128 v[18:21], v4 offset:1232
	s_waitcnt lgkmcnt(2)
	v_cndmask_b32_e64 v10, v22, v10, s1
	v_cmp_gt_f32_e64 s1, v7, v6
	s_delay_alu instid0(VALU_DEP_1) | instskip(NEXT) | instid1(VALU_DEP_3)
	v_cndmask_b32_e64 v6, v6, v7, s1
	v_cndmask_b32_e64 v7, v10, v11, s1
	s_delay_alu instid0(VALU_DEP_2) | instskip(NEXT) | instid1(VALU_DEP_1)
	v_cmp_gt_f32_e64 s1, v8, v6
	v_cndmask_b32_e64 v6, v6, v8, s1
	s_delay_alu instid0(VALU_DEP_3) | instskip(NEXT) | instid1(VALU_DEP_2)
	v_cndmask_b32_e64 v7, v7, v12, s1
	v_cmp_gt_f32_e64 s1, v9, v6
	s_delay_alu instid0(VALU_DEP_1) | instskip(NEXT) | instid1(VALU_DEP_3)
	v_cndmask_b32_e64 v6, v6, v9, s1
	v_cndmask_b32_e64 v10, v7, v13, s1
	s_waitcnt lgkmcnt(1)
	s_delay_alu instid0(VALU_DEP_2) | instskip(NEXT) | instid1(VALU_DEP_1)
	v_cmp_gt_f32_e64 s1, v14, v6
	v_cndmask_b32_e64 v11, v6, v14, s1
	s_waitcnt lgkmcnt(0)
	v_cndmask_b32_e64 v14, v10, v18, s1
	ds_load_b128 v[6:9], v4 offset:1504
	v_cmp_gt_f32_e64 s1, v15, v11
	s_delay_alu instid0(VALU_DEP_1) | instskip(SKIP_3) | instid1(VALU_DEP_1)
	v_cndmask_b32_e64 v15, v11, v15, s1
	v_cndmask_b32_e64 v14, v14, v19, s1
	ds_load_b128 v[10:13], v4 offset:1248
	v_cmp_gt_f32_e64 s1, v16, v15
	v_cndmask_b32_e64 v15, v15, v16, s1
	v_cndmask_b32_e64 v18, v14, v20, s1
	s_delay_alu instid0(VALU_DEP_2) | instskip(NEXT) | instid1(VALU_DEP_1)
	v_cmp_gt_f32_e64 s1, v17, v15
	v_cndmask_b32_e64 v19, v15, v17, s1
	ds_load_b128 v[14:17], v4 offset:1520
	v_cndmask_b32_e64 v22, v18, v21, s1
	s_waitcnt lgkmcnt(2)
	v_cmp_gt_f32_e64 s1, v6, v19
	s_delay_alu instid0(VALU_DEP_1) | instskip(SKIP_4) | instid1(VALU_DEP_1)
	v_cndmask_b32_e64 v6, v19, v6, s1
	ds_load_b128 v[18:21], v4 offset:1264
	s_waitcnt lgkmcnt(2)
	v_cndmask_b32_e64 v10, v22, v10, s1
	v_cmp_gt_f32_e64 s1, v7, v6
	v_cndmask_b32_e64 v6, v6, v7, s1
	s_delay_alu instid0(VALU_DEP_3) | instskip(NEXT) | instid1(VALU_DEP_2)
	v_cndmask_b32_e64 v7, v10, v11, s1
	v_cmp_gt_f32_e64 s1, v8, v6
	s_delay_alu instid0(VALU_DEP_1) | instskip(NEXT) | instid1(VALU_DEP_3)
	v_cndmask_b32_e64 v6, v6, v8, s1
	v_cndmask_b32_e64 v7, v7, v12, s1
	s_delay_alu instid0(VALU_DEP_2) | instskip(NEXT) | instid1(VALU_DEP_1)
	v_cmp_gt_f32_e64 s1, v9, v6
	v_cndmask_b32_e64 v6, v6, v9, s1
	s_delay_alu instid0(VALU_DEP_3) | instskip(SKIP_1) | instid1(VALU_DEP_2)
	v_cndmask_b32_e64 v7, v7, v13, s1
	s_waitcnt lgkmcnt(1)
	v_cmp_gt_f32_e64 s1, v14, v6
	s_delay_alu instid0(VALU_DEP_1) | instskip(SKIP_2) | instid1(VALU_DEP_2)
	v_cndmask_b32_e64 v6, v6, v14, s1
	s_waitcnt lgkmcnt(0)
	v_cndmask_b32_e64 v7, v7, v18, s1
	v_cmp_gt_f32_e64 s1, v15, v6
	s_delay_alu instid0(VALU_DEP_1) | instskip(NEXT) | instid1(VALU_DEP_3)
	v_cndmask_b32_e64 v6, v6, v15, s1
	v_cndmask_b32_e64 v7, v7, v19, s1
	s_delay_alu instid0(VALU_DEP_2) | instskip(NEXT) | instid1(VALU_DEP_1)
	v_cmp_gt_f32_e64 s1, v16, v6
	v_cndmask_b32_e64 v6, v6, v16, s1
	s_delay_alu instid0(VALU_DEP_3) | instskip(NEXT) | instid1(VALU_DEP_2)
	v_cndmask_b32_e64 v7, v7, v20, s1
	v_cmp_gt_f32_e64 s1, v17, v6
	s_delay_alu instid0(VALU_DEP_1)
	v_cndmask_b32_e64 v7, v7, v21, s1
	v_cndmask_b32_e64 v6, v6, v17, s1
	s_clause 0x1
	global_store_b32 v4, v7, s[10:11]
	global_store_b32 v4, v6, s[12:13]
	v_lshlrev_b32_e32 v8, 2, v7
	ds_store_b32 v8, v5
	s_branch .LBB13_5
.LBB13_12:
	s_mov_b32 s0, exec_lo
	v_cmpx_eq_u32_e32 0, v0
	s_cbranch_execz .LBB13_23
; %bb.13:
	v_cndmask_b32_e64 v0, 0, 1, s8
	v_mov_b32_e32 v1, 0xff800000
	s_and_not1_b32 vcc_lo, exec_lo, s8
	s_cbranch_vccnz .LBB13_16
; %bb.14:
	v_mov_b32_e32 v2, 0
	s_mov_b32 s1, 0
	s_mov_b32 s2, 0
.LBB13_15:                              ; =>This Inner Loop Header: Depth=1
	s_delay_alu instid0(SALU_CYCLE_1) | instskip(NEXT) | instid1(VALU_DEP_1)
	s_add_i32 s0, s3, s2
	v_max_f32_e32 v1, v1, v1
	s_lshl_b64 s[4:5], s[0:1], 2
	s_delay_alu instid0(SALU_CYCLE_1)
	s_add_u32 s4, s6, s4
	s_addc_u32 s5, s7, s5
	s_add_i32 s2, s2, 1
	global_load_b32 v3, v2, s[4:5]
	s_cmp_eq_u32 s3, s2
	s_waitcnt vmcnt(0)
	v_max_f32_e32 v3, v3, v3
	s_delay_alu instid0(VALU_DEP_1)
	v_max_f32_e32 v1, v1, v3
	s_cbranch_scc0 .LBB13_15
.LBB13_16:
	s_delay_alu instid0(VALU_DEP_2)
	v_cmp_ne_u32_e32 vcc_lo, 1, v0
	s_cbranch_vccnz .LBB13_20
; %bb.17:
	v_dual_mov_b32 v3, 0 :: v_dual_mov_b32 v2, 0
	s_mov_b32 s1, 0
	s_mov_b32 s2, 0
	s_set_inst_prefetch_distance 0x1
	.p2align	6
.LBB13_18:                              ; =>This Inner Loop Header: Depth=1
	s_add_i32 s0, s3, s2
	s_delay_alu instid0(SALU_CYCLE_1) | instskip(NEXT) | instid1(SALU_CYCLE_1)
	s_lshl_b64 s[4:5], s[0:1], 2
	s_add_u32 s4, s6, s4
	s_addc_u32 s5, s7, s5
	s_add_i32 s2, s2, 1
	global_load_b32 v4, v3, s[4:5]
	s_cmp_eq_u32 s3, s2
	s_waitcnt vmcnt(0)
	v_sub_f32_e32 v4, v4, v1
	s_delay_alu instid0(VALU_DEP_1) | instskip(NEXT) | instid1(VALU_DEP_1)
	v_mul_f32_e32 v5, 0x3fb8aa3b, v4
	v_fma_f32 v6, 0x3fb8aa3b, v4, -v5
	v_rndne_f32_e32 v7, v5
	s_delay_alu instid0(VALU_DEP_1) | instskip(SKIP_1) | instid1(VALU_DEP_4)
	v_sub_f32_e32 v5, v5, v7
	v_cmp_ngt_f32_e32 vcc_lo, 0xc2ce8ed0, v4
	v_fmac_f32_e32 v6, 0x32a5705f, v4
	s_delay_alu instid0(VALU_DEP_1) | instskip(SKIP_1) | instid1(VALU_DEP_2)
	v_add_f32_e32 v5, v5, v6
	v_cvt_i32_f32_e32 v6, v7
	v_exp_f32_e32 v5, v5
	s_waitcnt_depctr 0xfff
	v_ldexp_f32 v5, v5, v6
	s_delay_alu instid0(VALU_DEP_1) | instskip(SKIP_1) | instid1(VALU_DEP_2)
	v_cndmask_b32_e32 v5, 0, v5, vcc_lo
	v_cmp_nlt_f32_e32 vcc_lo, 0x42b17218, v4
	v_cndmask_b32_e32 v4, 0x7f800000, v5, vcc_lo
	s_delay_alu instid0(VALU_DEP_1)
	v_add_f32_e32 v2, v2, v4
	global_store_b32 v3, v4, s[4:5]
	s_cbranch_scc0 .LBB13_18
; %bb.19:
	s_set_inst_prefetch_distance 0x2
	v_cmp_ne_u32_e32 vcc_lo, 1, v0
	s_cbranch_vccz .LBB13_21
	s_branch .LBB13_23
.LBB13_20:
	v_mov_b32_e32 v2, 0
	v_cmp_ne_u32_e32 vcc_lo, 1, v0
	s_cbranch_vccnz .LBB13_23
.LBB13_21:
	s_delay_alu instid0(VALU_DEP_2) | instskip(SKIP_2) | instid1(VALU_DEP_2)
	v_div_scale_f32 v0, null, v2, v2, 1.0
	v_div_scale_f32 v4, vcc_lo, 1.0, v2, 1.0
	s_mov_b32 s1, 0
	v_rcp_f32_e32 v1, v0
	s_mov_b32 s2, 0
	s_waitcnt_depctr 0xfff
	v_fma_f32 v3, -v0, v1, 1.0
	s_delay_alu instid0(VALU_DEP_1) | instskip(NEXT) | instid1(VALU_DEP_1)
	v_fmac_f32_e32 v1, v3, v1
	v_mul_f32_e32 v3, v4, v1
	s_delay_alu instid0(VALU_DEP_1) | instskip(NEXT) | instid1(VALU_DEP_1)
	v_fma_f32 v5, -v0, v3, v4
	v_fmac_f32_e32 v3, v5, v1
	s_delay_alu instid0(VALU_DEP_1) | instskip(NEXT) | instid1(VALU_DEP_1)
	v_fma_f32 v0, -v0, v3, v4
	v_div_fmas_f32 v0, v0, v1, v3
	v_cmp_lt_f32_e32 vcc_lo, 0, v2
	v_mov_b32_e32 v1, 0
	s_delay_alu instid0(VALU_DEP_3) | instskip(NEXT) | instid1(VALU_DEP_1)
	v_div_fixup_f32 v0, v0, v2, 1.0
	v_cndmask_b32_e32 v0, 0, v0, vcc_lo
.LBB13_22:                              ; =>This Inner Loop Header: Depth=1
	s_add_i32 s0, s3, s2
	s_delay_alu instid0(SALU_CYCLE_1) | instskip(NEXT) | instid1(SALU_CYCLE_1)
	s_lshl_b64 s[4:5], s[0:1], 2
	s_add_u32 s4, s6, s4
	s_addc_u32 s5, s7, s5
	s_add_i32 s2, s2, 1
	global_load_b32 v2, v1, s[4:5]
	s_cmp_lg_u32 s3, s2
	s_waitcnt vmcnt(0)
	v_mul_f32_e32 v2, v0, v2
	global_store_b32 v1, v2, s[4:5]
	s_cbranch_scc1 .LBB13_22
.LBB13_23:
	s_nop 0
	s_sendmsg sendmsg(MSG_DEALLOC_VGPRS)
	s_endpgm
	.section	.rodata,"a",@progbits
	.p2align	6, 0x0
	.amdhsa_kernel softmax_topk
		.amdhsa_group_segment_fixed_size 1536
		.amdhsa_private_segment_fixed_size 0
		.amdhsa_kernarg_size 24
		.amdhsa_user_sgpr_count 15
		.amdhsa_user_sgpr_dispatch_ptr 0
		.amdhsa_user_sgpr_queue_ptr 0
		.amdhsa_user_sgpr_kernarg_segment_ptr 1
		.amdhsa_user_sgpr_dispatch_id 0
		.amdhsa_user_sgpr_private_segment_size 0
		.amdhsa_wavefront_size32 1
		.amdhsa_uses_dynamic_stack 0
		.amdhsa_enable_private_segment 0
		.amdhsa_system_sgpr_workgroup_id_x 1
		.amdhsa_system_sgpr_workgroup_id_y 0
		.amdhsa_system_sgpr_workgroup_id_z 0
		.amdhsa_system_sgpr_workgroup_info 0
		.amdhsa_system_vgpr_workitem_id 0
		.amdhsa_next_free_vgpr 23
		.amdhsa_next_free_sgpr 14
		.amdhsa_reserve_vcc 1
		.amdhsa_float_round_mode_32 0
		.amdhsa_float_round_mode_16_64 0
		.amdhsa_float_denorm_mode_32 3
		.amdhsa_float_denorm_mode_16_64 3
		.amdhsa_dx10_clamp 1
		.amdhsa_ieee_mode 1
		.amdhsa_fp16_overflow 0
		.amdhsa_workgroup_processor_mode 1
		.amdhsa_memory_ordered 1
		.amdhsa_forward_progress 0
		.amdhsa_shared_vgpr_count 0
		.amdhsa_exception_fp_ieee_invalid_op 0
		.amdhsa_exception_fp_denorm_src 0
		.amdhsa_exception_fp_ieee_div_zero 0
		.amdhsa_exception_fp_ieee_overflow 0
		.amdhsa_exception_fp_ieee_underflow 0
		.amdhsa_exception_fp_ieee_inexact 0
		.amdhsa_exception_int_div_zero 0
	.end_amdhsa_kernel
	.text
.Lfunc_end13:
	.size	softmax_topk, .Lfunc_end13-softmax_topk
                                        ; -- End function
	.section	.AMDGPU.csdata,"",@progbits
; Kernel info:
; codeLenInByte = 3212
; NumSgprs: 16
; NumVgprs: 23
; ScratchSize: 0
; MemoryBound: 0
; FloatMode: 240
; IeeeMode: 1
; LDSByteSize: 1536 bytes/workgroup (compile time only)
; SGPRBlocks: 1
; VGPRBlocks: 2
; NumSGPRsForWavesPerEU: 16
; NumVGPRsForWavesPerEU: 23
; Occupancy: 16
; WaveLimiterHint : 0
; COMPUTE_PGM_RSRC2:SCRATCH_EN: 0
; COMPUTE_PGM_RSRC2:USER_SGPR: 15
; COMPUTE_PGM_RSRC2:TRAP_HANDLER: 0
; COMPUTE_PGM_RSRC2:TGID_X_EN: 1
; COMPUTE_PGM_RSRC2:TGID_Y_EN: 0
; COMPUTE_PGM_RSRC2:TGID_Z_EN: 0
; COMPUTE_PGM_RSRC2:TIDIG_COMP_CNT: 0
	.text
	.protected	rope                    ; -- Begin function rope
	.globl	rope
	.p2align	8
	.type	rope,@function
rope:                                   ; @rope
; %bb.0:
	s_clause 0x1
	s_load_b64 s[6:7], s[0:1], 0x18
	s_load_b128 s[8:11], s[0:1], 0x0
	s_add_u32 s2, s0, 24
	s_addc_u32 s3, s1, 0
	s_waitcnt lgkmcnt(0)
	s_lshr_b32 s14, s7, 1
	s_mul_i32 s5, s6, s15
	s_mov_b32 s15, exec_lo
	v_cmpx_gt_u32_e64 s14, v0
	s_cbranch_execz .LBB14_15
; %bb.1:
	s_clause 0x1
	s_load_b32 s4, s[0:1], 0x24
	s_load_b32 s20, s[0:1], 0x3c
	s_clause 0x1
	s_load_b64 s[12:13], s[2:3], 0x10
	s_load_b64 s[2:3], s[0:1], 0x10
	v_dual_mov_b32 v2, 0 :: v_dual_lshlrev_b32 v1, 2, v0
	v_cvt_f32_u32_e32 v9, s7
	v_dual_mov_b32 v11, v0 :: v_dual_lshlrev_b32 v10, 1, v0
	s_mov_b32 s16, 0
	s_mov_b32 s17, 0x3e76c4e1
	;; [unrolled: 1-line block ×5, first 2 shown]
	s_waitcnt lgkmcnt(0)
	v_cvt_f32_u32_e32 v12, s4
	s_cmp_lg_u32 s13, 0
	v_add_co_u32 v3, s2, s2, v1
	s_delay_alu instid0(VALU_DEP_1)
	v_add_co_ci_u32_e64 v4, null, s3, 0, s2
	s_cselect_b32 s2, -1, 0
	s_cmp_lg_u32 s12, 0
	v_cmp_eq_f32_e64 s19, s12, 1.0
	v_cndmask_b32_e64 v13, 1.0, s13, s2
	s_cselect_b32 s13, -1, 0
	s_and_b32 s20, s20, 0xffff
	s_add_i32 s21, s14, s5
	s_lshl_b32 s22, s20, 2
	s_lshl_b32 s23, s20, 1
	s_branch .LBB14_3
.LBB14_2:                               ;   in Loop: Header=BB14_3 Depth=1
	s_or_b32 exec_lo, exec_lo, s2
	v_dual_mul_f32 v20, v18, v18 :: v_dual_and_b32 v21, 1, v19
	s_delay_alu instid0(VALU_DEP_2) | instskip(SKIP_2) | instid1(VALU_DEP_4)
	v_mul_f32_e32 v23, v1, v1
	v_xor_b32_e32 v17, v17, v16
	v_add_nc_u32_e32 v11, s20, v11
	v_fmaak_f32 v24, s24, v20, 0x3c0881c4
	v_dual_fmaak_f32 v25, s25, v20, 0xbab64f3b :: v_dual_and_b32 v26, 1, v22
	v_lshlrev_b32_e32 v19, 30, v19
	v_dual_fmaak_f32 v27, s24, v23, 0x3c0881c4 :: v_dual_lshlrev_b32 v22, 30, v22
	v_fmaak_f32 v28, s25, v23, 0xbab64f3b
	v_fmaak_f32 v24, v20, v24, 0xbe2aaa9d
	;; [unrolled: 1-line block ×3, first 2 shown]
	s_delay_alu instid0(VALU_DEP_4)
	v_fmaak_f32 v27, v23, v27, 0xbe2aaa9d
	v_cmp_eq_u32_e32 vcc_lo, 0, v21
	v_fmaak_f32 v28, v23, v28, 0x3d2aabf7
	v_mul_f32_e32 v24, v20, v24
	v_fmaak_f32 v25, v20, v25, 0xbf000004
	v_and_b32_e32 v19, 0x80000000, v19
	v_dual_mul_f32 v27, v23, v27 :: v_dual_and_b32 v22, 0x80000000, v22
	v_fmaak_f32 v28, v23, v28, 0xbf000004
	v_fmac_f32_e32 v18, v18, v24
	v_fma_f32 v20, v20, v25, 1.0
	v_add_co_u32 v3, s2, v3, s22
	s_delay_alu instid0(VALU_DEP_4) | instskip(SKIP_1) | instid1(VALU_DEP_4)
	v_fma_f32 v23, v23, v28, 1.0
	v_add_co_ci_u32_e64 v4, s2, 0, v4, s2
	v_cndmask_b32_e64 v18, -v18, v20, vcc_lo
	v_cmp_eq_u32_e32 vcc_lo, 0, v26
	v_add_nc_u32_e32 v10, s23, v10
	s_delay_alu instid0(VALU_DEP_3) | instskip(SKIP_1) | instid1(VALU_DEP_1)
	v_xor_b32_e32 v18, v19, v18
	v_fmac_f32_e32 v1, v1, v27
	v_cndmask_b32_e32 v1, v23, v1, vcc_lo
	v_cmp_class_f32_e64 vcc_lo, v16, 0x1f8
	s_delay_alu instid0(VALU_DEP_4) | instskip(NEXT) | instid1(VALU_DEP_1)
	v_cndmask_b32_e32 v16, 0x7fc00000, v18, vcc_lo
	v_mul_f32_e32 v16, v13, v16
	s_delay_alu instid0(VALU_DEP_4) | instskip(NEXT) | instid1(VALU_DEP_1)
	v_xor3_b32 v1, v17, v22, v1
	v_cndmask_b32_e32 v1, 0x7fc00000, v1, vcc_lo
	v_add_co_u32 v7, vcc_lo, s10, v7
	v_add_co_ci_u32_e32 v8, vcc_lo, s11, v8, vcc_lo
	s_delay_alu instid0(VALU_DEP_3) | instskip(SKIP_2) | instid1(VALU_DEP_3)
	v_mul_f32_e32 v1, v13, v1
	v_add_co_u32 v5, vcc_lo, s10, v5
	v_add_co_ci_u32_e32 v6, vcc_lo, s11, v6, vcc_lo
	v_mul_f32_e32 v17, v15, v1
	v_mul_f32_e32 v1, v14, v1
	v_cmp_le_u32_e32 vcc_lo, s14, v11
	s_delay_alu instid0(VALU_DEP_3) | instskip(NEXT) | instid1(VALU_DEP_3)
	v_fma_f32 v14, v14, v16, -v17
	v_fmac_f32_e32 v1, v15, v16
	s_or_b32 s16, vcc_lo, s16
	s_clause 0x1
	global_store_b32 v[7:8], v14, off
	global_store_b32 v[5:6], v1, off
	s_and_not1_b32 exec_lo, exec_lo, s16
	s_cbranch_execz .LBB14_15
.LBB14_3:                               ; =>This Inner Loop Header: Depth=1
	v_add_nc_u32_e32 v1, s5, v11
	s_delay_alu instid0(VALU_DEP_1) | instskip(SKIP_1) | instid1(VALU_DEP_1)
	v_lshlrev_b64 v[7:8], 2, v[1:2]
	v_add_nc_u32_e32 v1, s21, v11
	v_lshlrev_b64 v[5:6], 2, v[1:2]
	s_delay_alu instid0(VALU_DEP_3) | instskip(NEXT) | instid1(VALU_DEP_4)
	v_add_co_u32 v14, vcc_lo, s8, v7
	v_add_co_ci_u32_e32 v15, vcc_lo, s9, v8, vcc_lo
	s_delay_alu instid0(VALU_DEP_3) | instskip(NEXT) | instid1(VALU_DEP_4)
	v_add_co_u32 v16, vcc_lo, s8, v5
	v_add_co_ci_u32_e32 v17, vcc_lo, s9, v6, vcc_lo
	s_and_b32 vcc_lo, exec_lo, s13
	s_clause 0x1
	global_load_b32 v14, v[14:15], off
	global_load_b32 v15, v[16:17], off
	s_cbranch_vccz .LBB14_14
; %bb.4:                                ;   in Loop: Header=BB14_3 Depth=1
	v_cvt_f32_u32_e32 v1, v10
	s_delay_alu instid0(VALU_DEP_1) | instskip(SKIP_1) | instid1(VALU_DEP_2)
	v_div_scale_f32 v16, null, v9, v9, v1
	v_div_scale_f32 v19, vcc_lo, v1, v9, v1
	v_rcp_f32_e32 v17, v16
	s_waitcnt_depctr 0xfff
	v_fma_f32 v18, -v16, v17, 1.0
	s_delay_alu instid0(VALU_DEP_1) | instskip(NEXT) | instid1(VALU_DEP_1)
	v_fmac_f32_e32 v17, v18, v17
	v_mul_f32_e32 v18, v19, v17
	s_delay_alu instid0(VALU_DEP_1) | instskip(NEXT) | instid1(VALU_DEP_1)
	v_fma_f32 v20, -v16, v18, v19
	v_fmac_f32_e32 v18, v20, v17
	s_delay_alu instid0(VALU_DEP_1) | instskip(NEXT) | instid1(VALU_DEP_1)
	v_fma_f32 v16, -v16, v18, v19
	v_div_fmas_f32 v16, v16, v17, v18
	s_delay_alu instid0(VALU_DEP_1) | instskip(NEXT) | instid1(VALU_DEP_1)
	v_div_fixup_f32 v1, v16, v9, v1
	v_cndmask_b32_e64 v18, v1, 1.0, s19
	v_cndmask_b32_e64 v1, |v1|, 1.0, s19
	s_delay_alu instid0(VALU_DEP_2) | instskip(SKIP_1) | instid1(VALU_DEP_1)
	v_cmp_eq_f32_e32 vcc_lo, 0, v18
	v_cndmask_b32_e64 v19, |s12|, 1.0, vcc_lo
	v_frexp_mant_f32_e32 v16, v19
	s_delay_alu instid0(VALU_DEP_1) | instskip(NEXT) | instid1(VALU_DEP_1)
	v_cmp_gt_f32_e64 s2, 0x3f2aaaab, v16
	v_cndmask_b32_e64 v17, 1.0, 2.0, s2
	s_delay_alu instid0(VALU_DEP_1) | instskip(NEXT) | instid1(VALU_DEP_1)
	v_mul_f32_e32 v16, v16, v17
	v_add_f32_e32 v17, 1.0, v16
	v_add_f32_e32 v21, -1.0, v16
	s_delay_alu instid0(VALU_DEP_2) | instskip(SKIP_2) | instid1(VALU_DEP_1)
	v_rcp_f32_e32 v20, v17
	s_waitcnt_depctr 0xfff
	v_dual_mul_f32 v22, v21, v20 :: v_dual_add_f32 v23, -1.0, v17
	v_mul_f32_e32 v24, v17, v22
	s_delay_alu instid0(VALU_DEP_2) | instskip(NEXT) | instid1(VALU_DEP_2)
	v_sub_f32_e32 v16, v16, v23
	v_fma_f32 v17, v22, v17, -v24
	s_delay_alu instid0(VALU_DEP_1) | instskip(NEXT) | instid1(VALU_DEP_1)
	v_fmac_f32_e32 v17, v22, v16
	v_add_f32_e32 v16, v24, v17
	s_delay_alu instid0(VALU_DEP_1) | instskip(NEXT) | instid1(VALU_DEP_1)
	v_sub_f32_e32 v23, v21, v16
	v_dual_sub_f32 v24, v16, v24 :: v_dual_sub_f32 v21, v21, v23
	s_delay_alu instid0(VALU_DEP_1) | instskip(NEXT) | instid1(VALU_DEP_1)
	v_dual_sub_f32 v17, v24, v17 :: v_dual_sub_f32 v16, v21, v16
	v_add_f32_e32 v16, v17, v16
	s_delay_alu instid0(VALU_DEP_1) | instskip(NEXT) | instid1(VALU_DEP_1)
	v_add_f32_e32 v16, v23, v16
	v_mul_f32_e32 v16, v20, v16
	s_delay_alu instid0(VALU_DEP_1) | instskip(NEXT) | instid1(VALU_DEP_1)
	v_add_f32_e32 v20, v22, v16
	v_sub_f32_e32 v17, v20, v22
	s_delay_alu instid0(VALU_DEP_1) | instskip(NEXT) | instid1(VALU_DEP_1)
	v_sub_f32_e32 v22, v16, v17
	v_dual_mul_f32 v21, v20, v20 :: v_dual_add_f32 v16, v22, v22
	s_delay_alu instid0(VALU_DEP_1) | instskip(NEXT) | instid1(VALU_DEP_1)
	v_fma_f32 v23, v20, v20, -v21
	v_fmac_f32_e32 v23, v20, v16
	v_cvt_f64_f32_e32 v[16:17], v19
	s_delay_alu instid0(VALU_DEP_2) | instskip(NEXT) | instid1(VALU_DEP_1)
	v_add_f32_e32 v24, v21, v23
	v_fmaak_f32 v25, s17, v24, 0x3e91f4c4
	v_sub_f32_e32 v21, v24, v21
	v_mul_f32_e32 v28, v20, v24
	s_delay_alu instid0(VALU_DEP_3) | instskip(NEXT) | instid1(VALU_DEP_3)
	v_fmaak_f32 v25, v24, v25, 0x3ecccdef
	v_sub_f32_e32 v21, v23, v21
	s_delay_alu instid0(VALU_DEP_2) | instskip(NEXT) | instid1(VALU_DEP_1)
	v_mul_f32_e32 v26, v24, v25
	v_fma_f32 v23, v24, v25, -v26
	s_delay_alu instid0(VALU_DEP_1) | instskip(NEXT) | instid1(VALU_DEP_1)
	v_fmac_f32_e32 v23, v21, v25
	v_add_f32_e32 v25, v26, v23
	v_frexp_exp_i32_f64_e32 v16, v[16:17]
	s_delay_alu instid0(VALU_DEP_2) | instskip(NEXT) | instid1(VALU_DEP_1)
	v_dual_sub_f32 v26, v25, v26 :: v_dual_add_f32 v27, 0x3f2aaaaa, v25
	v_sub_f32_e32 v17, v23, v26
	s_delay_alu instid0(VALU_DEP_2) | instskip(SKIP_1) | instid1(VALU_DEP_1)
	v_add_f32_e32 v23, 0xbf2aaaaa, v27
	v_fma_f32 v26, v24, v20, -v28
	v_dual_sub_f32 v23, v25, v23 :: v_dual_fmac_f32 v26, v24, v22
	v_ldexp_f32 v22, v22, 1
	s_delay_alu instid0(VALU_DEP_2) | instskip(NEXT) | instid1(VALU_DEP_1)
	v_dual_fmac_f32 v26, v21, v20 :: v_dual_add_f32 v17, 0x31739010, v17
	v_add_f32_e32 v17, v17, v23
	s_delay_alu instid0(VALU_DEP_1) | instskip(NEXT) | instid1(VALU_DEP_1)
	v_add_f32_e32 v21, v27, v17
	v_dual_add_f32 v23, v28, v26 :: v_dual_sub_f32 v24, v27, v21
	s_delay_alu instid0(VALU_DEP_1) | instskip(SKIP_2) | instid1(VALU_DEP_4)
	v_mul_f32_e32 v25, v23, v21
	v_sub_f32_e32 v27, v23, v28
	v_subrev_co_ci_u32_e64 v16, s2, 0, v16, s2
	v_add_f32_e32 v17, v17, v24
	s_delay_alu instid0(VALU_DEP_4) | instskip(NEXT) | instid1(VALU_DEP_4)
	v_fma_f32 v24, v23, v21, -v25
	v_sub_f32_e32 v26, v26, v27
	s_delay_alu instid0(VALU_DEP_4) | instskip(NEXT) | instid1(VALU_DEP_3)
	v_cvt_f32_i32_e32 v16, v16
	v_fmac_f32_e32 v24, v23, v17
	v_ldexp_f32 v17, v20, 1
	s_delay_alu instid0(VALU_DEP_2) | instskip(NEXT) | instid1(VALU_DEP_1)
	v_fmac_f32_e32 v24, v26, v21
	v_add_f32_e32 v20, v25, v24
	s_delay_alu instid0(VALU_DEP_1) | instskip(SKIP_2) | instid1(VALU_DEP_3)
	v_add_f32_e32 v21, v17, v20
	v_sub_f32_e32 v23, v20, v25
	v_mul_f32_e32 v25, 0x3f317218, v16
	v_sub_f32_e32 v17, v21, v17
	s_delay_alu instid0(VALU_DEP_3) | instskip(NEXT) | instid1(VALU_DEP_3)
	v_sub_f32_e32 v23, v24, v23
	v_fma_f32 v24, 0x3f317218, v16, -v25
	s_delay_alu instid0(VALU_DEP_2) | instskip(NEXT) | instid1(VALU_DEP_2)
	v_dual_sub_f32 v17, v20, v17 :: v_dual_add_f32 v20, v22, v23
	v_fmac_f32_e32 v24, 0xb102e308, v16
	s_delay_alu instid0(VALU_DEP_2) | instskip(NEXT) | instid1(VALU_DEP_1)
	v_add_f32_e32 v16, v20, v17
	v_add_f32_e32 v20, v21, v16
	s_delay_alu instid0(VALU_DEP_1) | instskip(NEXT) | instid1(VALU_DEP_1)
	v_sub_f32_e32 v21, v20, v21
	v_dual_sub_f32 v16, v16, v21 :: v_dual_add_f32 v17, v25, v24
	s_delay_alu instid0(VALU_DEP_1) | instskip(NEXT) | instid1(VALU_DEP_1)
	v_sub_f32_e32 v25, v17, v25
	v_sub_f32_e32 v24, v24, v25
	v_add_f32_e32 v22, v17, v20
	s_delay_alu instid0(VALU_DEP_2) | instskip(NEXT) | instid1(VALU_DEP_2)
	v_add_f32_e32 v21, v24, v16
	v_sub_f32_e32 v23, v22, v17
	s_delay_alu instid0(VALU_DEP_1) | instskip(NEXT) | instid1(VALU_DEP_1)
	v_sub_f32_e32 v26, v22, v23
	v_dual_sub_f32 v20, v20, v23 :: v_dual_sub_f32 v17, v17, v26
	s_delay_alu instid0(VALU_DEP_1) | instskip(NEXT) | instid1(VALU_DEP_1)
	v_dual_add_f32 v17, v20, v17 :: v_dual_sub_f32 v20, v21, v24
	v_add_f32_e32 v17, v21, v17
	s_delay_alu instid0(VALU_DEP_2) | instskip(NEXT) | instid1(VALU_DEP_2)
	v_sub_f32_e32 v21, v21, v20
	v_dual_sub_f32 v16, v16, v20 :: v_dual_add_f32 v23, v22, v17
	s_delay_alu instid0(VALU_DEP_1) | instskip(NEXT) | instid1(VALU_DEP_1)
	v_dual_sub_f32 v20, v24, v21 :: v_dual_sub_f32 v21, v23, v22
	v_dual_add_f32 v16, v16, v20 :: v_dual_sub_f32 v17, v17, v21
	s_delay_alu instid0(VALU_DEP_1) | instskip(NEXT) | instid1(VALU_DEP_1)
	v_add_f32_e32 v16, v16, v17
	v_add_f32_e32 v17, v23, v16
	s_delay_alu instid0(VALU_DEP_1) | instskip(NEXT) | instid1(VALU_DEP_1)
	v_dual_sub_f32 v20, v17, v23 :: v_dual_mul_f32 v21, v18, v17
	v_sub_f32_e32 v16, v16, v20
	s_delay_alu instid0(VALU_DEP_2) | instskip(SKIP_1) | instid1(VALU_DEP_2)
	v_fma_f32 v17, v18, v17, -v21
	v_cmp_class_f32_e64 s2, v21, 0x204
	v_fmac_f32_e32 v17, v18, v16
	s_delay_alu instid0(VALU_DEP_1) | instskip(NEXT) | instid1(VALU_DEP_1)
	v_add_f32_e32 v16, v21, v17
	v_cndmask_b32_e64 v20, v16, v21, s2
	s_delay_alu instid0(VALU_DEP_1) | instskip(NEXT) | instid1(VALU_DEP_1)
	v_cmp_eq_f32_e64 s2, 0x42b17218, v20
	v_cndmask_b32_e64 v22, 0, 0x37000000, s2
	v_cmp_neq_f32_e64 s2, 0x7f800000, |v20|
	s_delay_alu instid0(VALU_DEP_2) | instskip(SKIP_2) | instid1(VALU_DEP_3)
	v_sub_f32_e32 v23, v20, v22
	v_sub_f32_e32 v16, v16, v21
	v_trunc_f32_e32 v20, v18
	v_mul_f32_e32 v24, 0x3fb8aa3b, v23
	s_delay_alu instid0(VALU_DEP_3) | instskip(NEXT) | instid1(VALU_DEP_2)
	v_sub_f32_e32 v16, v17, v16
	v_fma_f32 v25, 0x3fb8aa3b, v23, -v24
	v_rndne_f32_e32 v26, v24
	s_delay_alu instid0(VALU_DEP_3) | instskip(SKIP_1) | instid1(VALU_DEP_3)
	v_cndmask_b32_e64 v16, 0, v16, s2
	v_cmp_ngt_f32_e64 s2, 0xc2ce8ed0, v23
	v_dual_fmac_f32 v25, 0x32a5705f, v23 :: v_dual_sub_f32 v24, v24, v26
	v_cvt_i32_f32_e32 v21, v26
	s_delay_alu instid0(VALU_DEP_4) | instskip(NEXT) | instid1(VALU_DEP_3)
	v_add_f32_e32 v16, v22, v16
	v_add_f32_e32 v24, v24, v25
	s_delay_alu instid0(VALU_DEP_1) | instskip(SKIP_3) | instid1(VALU_DEP_2)
	v_exp_f32_e32 v24, v24
	s_waitcnt_depctr 0xfff
	v_ldexp_f32 v17, v24, v21
	v_mul_f32_e32 v21, 0.5, v18
	v_cndmask_b32_e64 v17, 0, v17, s2
	v_cmp_nlt_f32_e64 s2, 0x42b17218, v23
	s_delay_alu instid0(VALU_DEP_3) | instskip(NEXT) | instid1(VALU_DEP_2)
	v_trunc_f32_e32 v24, v21
	v_cndmask_b32_e64 v17, 0x7f800000, v17, s2
	v_cmp_eq_f32_e64 s2, v20, v18
	s_delay_alu instid0(VALU_DEP_3)
	v_cmp_neq_f32_e64 s3, v24, v21
	v_cndmask_b32_e64 v20, s12, 1.0, vcc_lo
	v_cmp_neq_f32_e32 vcc_lo, v18, v1
	v_fma_f32 v16, v17, v16, v17
	v_cmp_class_f32_e64 s4, v17, 0x204
	s_and_b32 s3, s2, s3
	s_delay_alu instid0(SALU_CYCLE_1) | instskip(SKIP_1) | instid1(VALU_DEP_3)
	v_cndmask_b32_e64 v21, 1.0, v20, s3
	v_cndmask_b32_e64 v23, 0, v20, s3
	v_cndmask_b32_e64 v16, v16, v17, s4
	v_cmp_gt_f32_e64 s4, 1.0, v19
	v_cmp_eq_f32_e64 s3, 0x7f800000, v1
	s_delay_alu instid0(VALU_DEP_3) | instskip(NEXT) | instid1(VALU_DEP_3)
	v_bfi_b32 v16, 0x7fffffff, v16, v21
	s_xor_b32 s4, vcc_lo, s4
	v_cmp_eq_f32_e32 vcc_lo, 0, v20
	v_cndmask_b32_e64 v17, v1, 0, s4
	s_delay_alu instid0(VALU_DEP_3) | instskip(SKIP_2) | instid1(VALU_DEP_2)
	v_cndmask_b32_e64 v22, 0x7fc00000, v16, s2
	v_cmp_eq_f32_e64 s2, 1.0, v19
	v_cndmask_b32_e64 v21, 0x7f800000, 0, vcc_lo
	v_cndmask_b32_e64 v17, v17, v19, s2
	v_cmp_gt_f32_e64 s2, 0, v20
	s_delay_alu instid0(VALU_DEP_1) | instskip(SKIP_2) | instid1(VALU_DEP_3)
	v_cndmask_b32_e64 v16, v16, v22, s2
	v_cmp_eq_f32_e64 s2, 0x7f800000, v19
	v_bfi_b32 v19, 0x7fffffff, v21, v23
	v_cndmask_b32_e64 v1, v16, v17, s3
	s_delay_alu instid0(VALU_DEP_3) | instskip(NEXT) | instid1(VALU_DEP_1)
	s_or_b32 vcc_lo, s2, vcc_lo
	v_cndmask_b32_e32 v1, v1, v19, vcc_lo
	s_delay_alu instid0(VALU_DEP_1) | instskip(NEXT) | instid1(VALU_DEP_1)
	v_div_scale_f32 v16, null, v1, v1, 1.0
	v_rcp_f32_e32 v17, v16
	s_waitcnt_depctr 0xfff
	v_fma_f32 v19, -v16, v17, 1.0
	s_delay_alu instid0(VALU_DEP_1) | instskip(SKIP_1) | instid1(VALU_DEP_1)
	v_fmac_f32_e32 v17, v19, v17
	v_div_scale_f32 v19, vcc_lo, 1.0, v1, 1.0
	v_mul_f32_e32 v21, v19, v17
	s_delay_alu instid0(VALU_DEP_1) | instskip(NEXT) | instid1(VALU_DEP_1)
	v_fma_f32 v22, -v16, v21, v19
	v_fmac_f32_e32 v21, v22, v17
	s_delay_alu instid0(VALU_DEP_1) | instskip(NEXT) | instid1(VALU_DEP_1)
	v_fma_f32 v16, -v16, v21, v19
	v_div_fmas_f32 v16, v16, v17, v21
	v_cmp_o_f32_e32 vcc_lo, v20, v18
	s_delay_alu instid0(VALU_DEP_2) | instskip(NEXT) | instid1(VALU_DEP_1)
	v_div_fixup_f32 v1, v16, v1, 1.0
	v_cndmask_b32_e32 v1, 0x7fc00000, v1, vcc_lo
	s_cbranch_execnz .LBB14_6
.LBB14_5:                               ;   in Loop: Header=BB14_3 Depth=1
	global_load_b32 v1, v[3:4], off
.LBB14_6:                               ;   in Loop: Header=BB14_3 Depth=1
	s_waitcnt vmcnt(0)
	s_delay_alu instid0(VALU_DEP_1) | instskip(NEXT) | instid1(VALU_DEP_1)
	v_mul_f32_e32 v16, v1, v12
                                        ; implicit-def: $vgpr19
                                        ; implicit-def: $vgpr18
	v_and_b32_e32 v17, 0x7fffffff, v16
	s_delay_alu instid0(VALU_DEP_1) | instskip(SKIP_1) | instid1(VALU_DEP_2)
	v_lshrrev_b32_e32 v1, 23, v17
	v_and_or_b32 v20, v17, s18, 0x800000
	v_add_nc_u32_e32 v21, 0xffffff88, v1
	v_cmp_ngt_f32_e64 s26, 0x48000000, |v16|
	s_delay_alu instid0(VALU_DEP_1) | instskip(NEXT) | instid1(SALU_CYCLE_1)
	s_and_saveexec_b32 s2, s26
	s_xor_b32 s27, exec_lo, s2
	s_cbranch_execz .LBB14_8
; %bb.7:                                ;   in Loop: Header=BB14_3 Depth=1
	v_mad_u64_u32 v[18:19], null, 0xfe5163ab, v20, 0
	v_cmp_lt_u32_e32 vcc_lo, 63, v21
	s_delay_alu instid0(VALU_DEP_2) | instskip(SKIP_1) | instid1(VALU_DEP_2)
	v_mov_b32_e32 v1, v19
	v_cndmask_b32_e64 v19, 0, 0xffffffc0, vcc_lo
	v_mad_u64_u32 v[22:23], null, 0x3c439041, v20, v[1:2]
	s_delay_alu instid0(VALU_DEP_2) | instskip(NEXT) | instid1(VALU_DEP_1)
	v_add_nc_u32_e32 v19, v19, v21
	v_cmp_lt_u32_e64 s2, 31, v19
	s_delay_alu instid0(VALU_DEP_3) | instskip(NEXT) | instid1(VALU_DEP_2)
	v_mov_b32_e32 v1, v23
	v_cndmask_b32_e64 v28, 0, 0xffffffe0, s2
	s_delay_alu instid0(VALU_DEP_2) | instskip(NEXT) | instid1(VALU_DEP_2)
	v_mad_u64_u32 v[23:24], null, 0xdb629599, v20, v[1:2]
	v_add_nc_u32_e32 v19, v28, v19
	s_delay_alu instid0(VALU_DEP_2) | instskip(NEXT) | instid1(VALU_DEP_2)
	v_dual_mov_b32 v1, v24 :: v_dual_cndmask_b32 v18, v23, v18
	v_cmp_lt_u32_e64 s3, 31, v19
	s_delay_alu instid0(VALU_DEP_2) | instskip(NEXT) | instid1(VALU_DEP_1)
	v_mad_u64_u32 v[24:25], null, 0xf534ddc0, v20, v[1:2]
	v_mov_b32_e32 v1, v25
	s_delay_alu instid0(VALU_DEP_1) | instskip(NEXT) | instid1(VALU_DEP_1)
	v_mad_u64_u32 v[25:26], null, 0xfc2757d1, v20, v[1:2]
	v_mov_b32_e32 v1, v26
	s_delay_alu instid0(VALU_DEP_1) | instskip(NEXT) | instid1(VALU_DEP_1)
	v_mad_u64_u32 v[26:27], null, 0x4e441529, v20, v[1:2]
	v_mov_b32_e32 v1, v27
	s_delay_alu instid0(VALU_DEP_2) | instskip(NEXT) | instid1(VALU_DEP_2)
	v_cndmask_b32_e32 v29, v26, v24, vcc_lo
	v_mad_u64_u32 v[27:28], null, 0xa2f9836e, v20, v[1:2]
	v_cndmask_b32_e64 v1, 0, 0xffffffe0, s3
	s_delay_alu instid0(VALU_DEP_1) | instskip(NEXT) | instid1(VALU_DEP_3)
	v_add_nc_u32_e32 v1, v1, v19
	v_dual_cndmask_b32 v27, v27, v25 :: v_dual_cndmask_b32 v26, v28, v26
	v_cndmask_b32_e32 v25, v25, v23, vcc_lo
	v_cndmask_b32_e32 v19, v24, v22, vcc_lo
	s_delay_alu instid0(VALU_DEP_4) | instskip(NEXT) | instid1(VALU_DEP_4)
	v_cmp_eq_u32_e64 s4, 0, v1
	v_cndmask_b32_e64 v22, v27, v29, s2
	v_cndmask_b32_e64 v24, v26, v27, s2
	;; [unrolled: 1-line block ×3, first 2 shown]
	v_sub_nc_u32_e32 v27, 32, v1
	v_cndmask_b32_e64 v25, v25, v19, s2
	v_cndmask_b32_e64 v18, v19, v18, s2
	;; [unrolled: 1-line block ×4, first 2 shown]
	s_delay_alu instid0(VALU_DEP_4) | instskip(NEXT) | instid1(VALU_DEP_4)
	v_cndmask_b32_e64 v26, v26, v25, s3
	v_cndmask_b32_e64 v18, v25, v18, s3
	s_delay_alu instid0(VALU_DEP_3) | instskip(NEXT) | instid1(VALU_DEP_3)
	v_alignbit_b32 v28, v24, v22, v27
	v_alignbit_b32 v29, v22, v26, v27
	s_delay_alu instid0(VALU_DEP_3) | instskip(NEXT) | instid1(VALU_DEP_3)
	v_alignbit_b32 v27, v26, v18, v27
	v_cndmask_b32_e64 v1, v28, v24, s4
	s_delay_alu instid0(VALU_DEP_3) | instskip(NEXT) | instid1(VALU_DEP_3)
	v_cndmask_b32_e64 v22, v29, v22, s4
	v_cndmask_b32_e64 v26, v27, v26, s4
	s_delay_alu instid0(VALU_DEP_3) | instskip(NEXT) | instid1(VALU_DEP_3)
	v_bfe_u32 v23, v1, 29, 1
	v_alignbit_b32 v19, v1, v22, 30
	s_delay_alu instid0(VALU_DEP_3) | instskip(SKIP_1) | instid1(VALU_DEP_4)
	v_alignbit_b32 v22, v22, v26, 30
	v_alignbit_b32 v18, v26, v18, 30
	v_sub_nc_u32_e32 v24, 0, v23
	s_delay_alu instid0(VALU_DEP_1) | instskip(SKIP_3) | instid1(VALU_DEP_4)
	v_xor_b32_e32 v25, v19, v24
	v_cmp_ne_u32_e32 vcc_lo, v19, v24
	v_xor_b32_e32 v22, v22, v24
	v_xor_b32_e32 v18, v18, v24
	v_clz_i32_u32_e32 v28, v25
	s_delay_alu instid0(VALU_DEP_1) | instskip(NEXT) | instid1(VALU_DEP_1)
	v_add_nc_u32_e32 v27, 1, v28
	v_cndmask_b32_e32 v19, 33, v27, vcc_lo
	s_delay_alu instid0(VALU_DEP_1) | instskip(NEXT) | instid1(VALU_DEP_1)
	v_sub_nc_u32_e32 v26, 32, v19
	v_alignbit_b32 v24, v25, v22, v26
	v_alignbit_b32 v18, v22, v18, v26
	v_lshrrev_b32_e32 v22, 29, v1
	v_lshrrev_b32_e32 v1, 30, v1
	s_delay_alu instid0(VALU_DEP_3) | instskip(NEXT) | instid1(VALU_DEP_3)
	v_alignbit_b32 v25, v24, v18, 9
	v_lshlrev_b32_e32 v22, 31, v22
	v_alignbit_b32 v24, v19, v24, 9
	s_delay_alu instid0(VALU_DEP_3) | instskip(NEXT) | instid1(VALU_DEP_2)
	v_clz_i32_u32_e32 v26, v25
	v_or_b32_e32 v24, v24, v22
	v_or_b32_e32 v22, 0x33800000, v22
	s_delay_alu instid0(VALU_DEP_3) | instskip(NEXT) | instid1(VALU_DEP_3)
	v_min_u32_e32 v26, 32, v26
	v_xor_b32_e32 v24, 1.0, v24
	s_delay_alu instid0(VALU_DEP_2) | instskip(SKIP_1) | instid1(VALU_DEP_3)
	v_sub_nc_u32_e32 v27, 31, v26
	v_add_lshl_u32 v19, v26, v19, 23
	v_mul_f32_e32 v26, 0x3fc90fda, v24
	s_delay_alu instid0(VALU_DEP_3) | instskip(NEXT) | instid1(VALU_DEP_3)
	v_alignbit_b32 v18, v25, v18, v27
	v_sub_nc_u32_e32 v19, v22, v19
	s_delay_alu instid0(VALU_DEP_3) | instskip(NEXT) | instid1(VALU_DEP_3)
	v_fma_f32 v22, 0x3fc90fda, v24, -v26
	v_lshrrev_b32_e32 v18, 9, v18
	s_delay_alu instid0(VALU_DEP_2) | instskip(NEXT) | instid1(VALU_DEP_2)
	v_fmac_f32_e32 v22, 0x33a22168, v24
	v_or_b32_e32 v18, v19, v18
	s_delay_alu instid0(VALU_DEP_1) | instskip(NEXT) | instid1(VALU_DEP_1)
	v_dual_fmac_f32 v22, 0x3fc90fda, v18 :: v_dual_add_nc_u32 v19, v23, v1
	v_add_f32_e32 v18, v26, v22
.LBB14_8:                               ;   in Loop: Header=BB14_3 Depth=1
	s_or_saveexec_b32 s2, s27
	v_mul_f32_e64 v1, 0x3f22f983, |v16|
	s_delay_alu instid0(VALU_DEP_1)
	v_rndne_f32_e32 v23, v1
	s_xor_b32 exec_lo, exec_lo, s2
; %bb.9:                                ;   in Loop: Header=BB14_3 Depth=1
	s_delay_alu instid0(VALU_DEP_1) | instskip(SKIP_1) | instid1(VALU_DEP_2)
	v_fma_f32 v18, 0xbfc90fda, v23, |v16|
	v_cvt_i32_f32_e32 v19, v23
	v_fmac_f32_e32 v18, 0xb3a22168, v23
	s_delay_alu instid0(VALU_DEP_1)
	v_fmac_f32_e32 v18, 0xa7c234c4, v23
; %bb.10:                               ;   in Loop: Header=BB14_3 Depth=1
	s_or_b32 exec_lo, exec_lo, s2
                                        ; implicit-def: $vgpr22
                                        ; implicit-def: $vgpr1
	s_and_saveexec_b32 s2, s26
	s_delay_alu instid0(SALU_CYCLE_1)
	s_xor_b32 s26, exec_lo, s2
	s_cbranch_execz .LBB14_12
; %bb.11:                               ;   in Loop: Header=BB14_3 Depth=1
	v_mad_u64_u32 v[22:23], null, 0xfe5163ab, v20, 0
	v_cmp_lt_u32_e32 vcc_lo, 63, v21
	v_cndmask_b32_e64 v28, 0, 0xffffffc0, vcc_lo
	s_delay_alu instid0(VALU_DEP_3) | instskip(NEXT) | instid1(VALU_DEP_2)
	v_mov_b32_e32 v1, v23
	v_add_nc_u32_e32 v21, v28, v21
	s_delay_alu instid0(VALU_DEP_2) | instskip(NEXT) | instid1(VALU_DEP_2)
	v_mad_u64_u32 v[23:24], null, 0x3c439041, v20, v[1:2]
	v_cmp_lt_u32_e64 s2, 31, v21
	s_delay_alu instid0(VALU_DEP_2) | instskip(NEXT) | instid1(VALU_DEP_2)
	v_mov_b32_e32 v1, v24
	v_cndmask_b32_e64 v29, 0, 0xffffffe0, s2
	s_delay_alu instid0(VALU_DEP_2) | instskip(NEXT) | instid1(VALU_DEP_2)
	v_mad_u64_u32 v[24:25], null, 0xdb629599, v20, v[1:2]
	v_add_nc_u32_e32 v21, v29, v21
	s_delay_alu instid0(VALU_DEP_1) | instskip(NEXT) | instid1(VALU_DEP_3)
	v_cmp_lt_u32_e64 s3, 31, v21
	v_dual_mov_b32 v1, v25 :: v_dual_cndmask_b32 v22, v24, v22
	s_delay_alu instid0(VALU_DEP_1) | instskip(NEXT) | instid1(VALU_DEP_1)
	v_mad_u64_u32 v[25:26], null, 0xf534ddc0, v20, v[1:2]
	v_mov_b32_e32 v1, v26
	s_delay_alu instid0(VALU_DEP_1) | instskip(NEXT) | instid1(VALU_DEP_1)
	v_mad_u64_u32 v[26:27], null, 0xfc2757d1, v20, v[1:2]
	v_mov_b32_e32 v1, v27
	;; [unrolled: 3-line block ×3, first 2 shown]
	s_delay_alu instid0(VALU_DEP_1) | instskip(SKIP_1) | instid1(VALU_DEP_4)
	v_mad_u64_u32 v[28:29], null, 0xa2f9836e, v20, v[1:2]
	v_cndmask_b32_e64 v1, 0, 0xffffffe0, s3
	v_cndmask_b32_e32 v20, v27, v25, vcc_lo
	s_delay_alu instid0(VALU_DEP_2) | instskip(NEXT) | instid1(VALU_DEP_4)
	v_dual_cndmask_b32 v28, v28, v26 :: v_dual_add_nc_u32 v1, v1, v21
	v_dual_cndmask_b32 v27, v29, v27 :: v_dual_cndmask_b32 v26, v26, v24
	v_cndmask_b32_e32 v21, v25, v23, vcc_lo
	s_delay_alu instid0(VALU_DEP_3) | instskip(NEXT) | instid1(VALU_DEP_4)
	v_cmp_eq_u32_e64 s4, 0, v1
	v_cndmask_b32_e64 v23, v28, v20, s2
	s_delay_alu instid0(VALU_DEP_4)
	v_cndmask_b32_e64 v25, v27, v28, s2
	v_cndmask_b32_e64 v20, v20, v26, s2
	v_sub_nc_u32_e32 v27, 32, v1
	v_cndmask_b32_e64 v26, v26, v21, s2
	v_cndmask_b32_e64 v21, v21, v22, s2
	;; [unrolled: 1-line block ×4, first 2 shown]
	s_delay_alu instid0(VALU_DEP_4) | instskip(NEXT) | instid1(VALU_DEP_4)
	v_cndmask_b32_e64 v20, v20, v26, s3
	v_cndmask_b32_e64 v21, v26, v21, s3
	s_delay_alu instid0(VALU_DEP_3) | instskip(NEXT) | instid1(VALU_DEP_3)
	v_alignbit_b32 v28, v25, v23, v27
	v_alignbit_b32 v29, v23, v20, v27
	s_delay_alu instid0(VALU_DEP_3) | instskip(NEXT) | instid1(VALU_DEP_3)
	v_alignbit_b32 v27, v20, v21, v27
	v_cndmask_b32_e64 v1, v28, v25, s4
	s_delay_alu instid0(VALU_DEP_3) | instskip(NEXT) | instid1(VALU_DEP_3)
	v_cndmask_b32_e64 v23, v29, v23, s4
	v_cndmask_b32_e64 v20, v27, v20, s4
	s_delay_alu instid0(VALU_DEP_3) | instskip(NEXT) | instid1(VALU_DEP_3)
	v_bfe_u32 v24, v1, 29, 1
	v_alignbit_b32 v22, v1, v23, 30
	s_delay_alu instid0(VALU_DEP_3) | instskip(SKIP_1) | instid1(VALU_DEP_4)
	v_alignbit_b32 v23, v23, v20, 30
	v_alignbit_b32 v20, v20, v21, 30
	v_sub_nc_u32_e32 v25, 0, v24
	s_delay_alu instid0(VALU_DEP_1) | instskip(SKIP_3) | instid1(VALU_DEP_4)
	v_xor_b32_e32 v26, v22, v25
	v_cmp_ne_u32_e32 vcc_lo, v22, v25
	v_xor_b32_e32 v21, v23, v25
	v_xor_b32_e32 v20, v20, v25
	v_clz_i32_u32_e32 v28, v26
	s_delay_alu instid0(VALU_DEP_1) | instskip(NEXT) | instid1(VALU_DEP_1)
	v_add_nc_u32_e32 v27, 1, v28
	v_cndmask_b32_e32 v22, 33, v27, vcc_lo
	s_delay_alu instid0(VALU_DEP_1) | instskip(NEXT) | instid1(VALU_DEP_1)
	v_sub_nc_u32_e32 v23, 32, v22
	v_alignbit_b32 v25, v26, v21, v23
	v_alignbit_b32 v20, v21, v20, v23
	v_lshrrev_b32_e32 v21, 29, v1
	s_delay_alu instid0(VALU_DEP_2) | instskip(NEXT) | instid1(VALU_DEP_2)
	v_alignbit_b32 v23, v25, v20, 9
	v_lshlrev_b32_e32 v21, 31, v21
	v_alignbit_b32 v25, v22, v25, 9
	s_delay_alu instid0(VALU_DEP_3) | instskip(NEXT) | instid1(VALU_DEP_2)
	v_clz_i32_u32_e32 v26, v23
	v_or_b32_e32 v25, v25, v21
	v_or_b32_e32 v21, 0x33800000, v21
	s_delay_alu instid0(VALU_DEP_3) | instskip(NEXT) | instid1(VALU_DEP_3)
	v_min_u32_e32 v26, 32, v26
	v_xor_b32_e32 v25, 1.0, v25
	s_delay_alu instid0(VALU_DEP_2) | instskip(SKIP_1) | instid1(VALU_DEP_3)
	v_sub_nc_u32_e32 v27, 31, v26
	v_add_lshl_u32 v22, v26, v22, 23
	v_mul_f32_e32 v26, 0x3fc90fda, v25
	s_delay_alu instid0(VALU_DEP_3) | instskip(NEXT) | instid1(VALU_DEP_3)
	v_alignbit_b32 v20, v23, v20, v27
	v_sub_nc_u32_e32 v21, v21, v22
	s_delay_alu instid0(VALU_DEP_3) | instskip(NEXT) | instid1(VALU_DEP_3)
	v_fma_f32 v22, 0x3fc90fda, v25, -v26
                                        ; implicit-def: $vgpr23
	v_lshrrev_b32_e32 v20, 9, v20
	s_delay_alu instid0(VALU_DEP_2) | instskip(NEXT) | instid1(VALU_DEP_2)
	v_fmac_f32_e32 v22, 0x33a22168, v25
	v_or_b32_e32 v20, v21, v20
	s_delay_alu instid0(VALU_DEP_1) | instskip(SKIP_1) | instid1(VALU_DEP_1)
	v_fmac_f32_e32 v22, 0x3fc90fda, v20
	v_lshrrev_b32_e32 v20, 30, v1
	v_dual_add_f32 v1, v26, v22 :: v_dual_add_nc_u32 v22, v24, v20
	s_and_not1_saveexec_b32 s2, s26
	s_cbranch_execz .LBB14_2
	s_branch .LBB14_13
.LBB14_12:                              ;   in Loop: Header=BB14_3 Depth=1
	s_and_not1_saveexec_b32 s2, s26
	s_cbranch_execz .LBB14_2
.LBB14_13:                              ;   in Loop: Header=BB14_3 Depth=1
	v_fma_f32 v1, 0xbfc90fda, v23, |v16|
	v_cvt_i32_f32_e32 v22, v23
	s_delay_alu instid0(VALU_DEP_2) | instskip(NEXT) | instid1(VALU_DEP_1)
	v_fmac_f32_e32 v1, 0xb3a22168, v23
	v_fmac_f32_e32 v1, 0xa7c234c4, v23
	s_branch .LBB14_2
.LBB14_14:                              ;   in Loop: Header=BB14_3 Depth=1
                                        ; implicit-def: $vgpr1
	s_branch .LBB14_5
.LBB14_15:
	s_or_b32 exec_lo, exec_lo, s15
	v_add_nc_u32_e32 v2, s7, v0
	s_mov_b32 s2, exec_lo
	s_delay_alu instid0(VALU_DEP_1)
	v_cmpx_gt_u32_e64 s6, v2
	s_cbranch_execz .LBB14_18
; %bb.16:
	s_load_b32 s0, s[0:1], 0x3c
	v_mov_b32_e32 v1, 0
	s_mov_b32 s2, 0
	s_waitcnt lgkmcnt(0)
	s_and_b32 s1, s0, 0xffff
	.p2align	6
.LBB14_17:                              ; =>This Inner Loop Header: Depth=1
	v_add_nc_u32_e32 v0, s5, v2
	v_add_nc_u32_e32 v2, s1, v2
	s_delay_alu instid0(VALU_DEP_2) | instskip(NEXT) | instid1(VALU_DEP_1)
	v_lshlrev_b64 v[3:4], 2, v[0:1]
	v_add_co_u32 v5, vcc_lo, s8, v3
	s_delay_alu instid0(VALU_DEP_2) | instskip(NEXT) | instid1(VALU_DEP_4)
	v_add_co_ci_u32_e32 v6, vcc_lo, s9, v4, vcc_lo
	v_cmp_le_u32_e32 vcc_lo, s6, v2
	v_add_co_u32 v3, s0, s10, v3
	global_load_b32 v0, v[5:6], off
	v_add_co_ci_u32_e64 v4, s0, s11, v4, s0
	s_or_b32 s2, vcc_lo, s2
	s_waitcnt vmcnt(0)
	global_store_b32 v[3:4], v0, off
	s_and_not1_b32 exec_lo, exec_lo, s2
	s_cbranch_execnz .LBB14_17
.LBB14_18:
	s_nop 0
	s_sendmsg sendmsg(MSG_DEALLOC_VGPRS)
	s_endpgm
	.section	.rodata,"a",@progbits
	.p2align	6, 0x0
	.amdhsa_kernel rope
		.amdhsa_group_segment_fixed_size 0
		.amdhsa_private_segment_fixed_size 0
		.amdhsa_kernarg_size 304
		.amdhsa_user_sgpr_count 15
		.amdhsa_user_sgpr_dispatch_ptr 0
		.amdhsa_user_sgpr_queue_ptr 0
		.amdhsa_user_sgpr_kernarg_segment_ptr 1
		.amdhsa_user_sgpr_dispatch_id 0
		.amdhsa_user_sgpr_private_segment_size 0
		.amdhsa_wavefront_size32 1
		.amdhsa_uses_dynamic_stack 0
		.amdhsa_enable_private_segment 0
		.amdhsa_system_sgpr_workgroup_id_x 1
		.amdhsa_system_sgpr_workgroup_id_y 0
		.amdhsa_system_sgpr_workgroup_id_z 0
		.amdhsa_system_sgpr_workgroup_info 0
		.amdhsa_system_vgpr_workitem_id 0
		.amdhsa_next_free_vgpr 30
		.amdhsa_next_free_sgpr 28
		.amdhsa_reserve_vcc 1
		.amdhsa_float_round_mode_32 0
		.amdhsa_float_round_mode_16_64 0
		.amdhsa_float_denorm_mode_32 3
		.amdhsa_float_denorm_mode_16_64 3
		.amdhsa_dx10_clamp 1
		.amdhsa_ieee_mode 1
		.amdhsa_fp16_overflow 0
		.amdhsa_workgroup_processor_mode 1
		.amdhsa_memory_ordered 1
		.amdhsa_forward_progress 0
		.amdhsa_shared_vgpr_count 0
		.amdhsa_exception_fp_ieee_invalid_op 0
		.amdhsa_exception_fp_denorm_src 0
		.amdhsa_exception_fp_ieee_div_zero 0
		.amdhsa_exception_fp_ieee_overflow 0
		.amdhsa_exception_fp_ieee_underflow 0
		.amdhsa_exception_fp_ieee_inexact 0
		.amdhsa_exception_int_div_zero 0
	.end_amdhsa_kernel
	.text
.Lfunc_end14:
	.size	rope, .Lfunc_end14-rope
                                        ; -- End function
	.section	.AMDGPU.csdata,"",@progbits
; Kernel info:
; codeLenInByte = 3772
; NumSgprs: 30
; NumVgprs: 30
; ScratchSize: 0
; MemoryBound: 0
; FloatMode: 240
; IeeeMode: 1
; LDSByteSize: 0 bytes/workgroup (compile time only)
; SGPRBlocks: 3
; VGPRBlocks: 3
; NumSGPRsForWavesPerEU: 30
; NumVGPRsForWavesPerEU: 30
; Occupancy: 16
; WaveLimiterHint : 0
; COMPUTE_PGM_RSRC2:SCRATCH_EN: 0
; COMPUTE_PGM_RSRC2:USER_SGPR: 15
; COMPUTE_PGM_RSRC2:TRAP_HANDLER: 0
; COMPUTE_PGM_RSRC2:TGID_X_EN: 1
; COMPUTE_PGM_RSRC2:TGID_Y_EN: 0
; COMPUTE_PGM_RSRC2:TGID_Z_EN: 0
; COMPUTE_PGM_RSRC2:TIDIG_COMP_CNT: 0
	.text
	.protected	argmax                  ; -- Begin function argmax
	.globl	argmax
	.p2align	8
	.type	argmax,@function
argmax:                                 ; @argmax
; %bb.0:
	s_clause 0x1
	s_load_b32 s3, s[0:1], 0x10
	s_load_b128 s[4:7], s[0:1], 0x0
	v_dual_mov_b32 v3, 0xff7fc99e :: v_dual_mov_b32 v4, 0
	s_mov_b32 s8, exec_lo
	s_waitcnt lgkmcnt(0)
	v_cmpx_gt_u32_e64 s3, v0
	s_cbranch_execz .LBB15_4
; %bb.1:
	s_load_b32 s2, s[0:1], 0x24
	v_dual_mov_b32 v3, 0xff7fc99e :: v_dual_mov_b32 v4, 0
	v_dual_mov_b32 v2, 0 :: v_dual_mov_b32 v1, v0
	s_mov_b32 s9, 0
	s_waitcnt lgkmcnt(0)
	s_and_b32 s10, s2, 0xffff
.LBB15_2:                               ; =>This Inner Loop Header: Depth=1
	s_delay_alu instid0(VALU_DEP_1) | instskip(NEXT) | instid1(VALU_DEP_1)
	v_lshlrev_b64 v[5:6], 2, v[1:2]
	v_add_co_u32 v5, vcc_lo, s4, v5
	s_delay_alu instid0(VALU_DEP_2)
	v_add_co_ci_u32_e32 v6, vcc_lo, s5, v6, vcc_lo
	global_load_b32 v5, v[5:6], off
	s_waitcnt vmcnt(0)
	v_cmp_gt_f32_e32 vcc_lo, v5, v3
	v_cndmask_b32_e32 v4, v4, v1, vcc_lo
	v_add_nc_u32_e32 v1, s10, v1
	v_cndmask_b32_e32 v3, v3, v5, vcc_lo
	s_delay_alu instid0(VALU_DEP_2) | instskip(NEXT) | instid1(VALU_DEP_1)
	v_cmp_le_u32_e64 s2, s3, v1
	s_or_b32 s9, s2, s9
	s_delay_alu instid0(SALU_CYCLE_1)
	s_and_not1_b32 exec_lo, exec_lo, s9
	s_cbranch_execnz .LBB15_2
; %bb.3:
	s_or_b32 exec_lo, exec_lo, s9
.LBB15_4:
	s_delay_alu instid0(SALU_CYCLE_1) | instskip(SKIP_2) | instid1(VALU_DEP_1)
	s_or_b32 exec_lo, exec_lo, s8
	v_mbcnt_lo_u32_b32 v1, -1, 0
	s_mov_b32 s4, exec_lo
	v_cmp_gt_u32_e32 vcc_lo, 16, v1
	v_cndmask_b32_e64 v2, 0, 1, vcc_lo
	s_delay_alu instid0(VALU_DEP_1) | instskip(NEXT) | instid1(VALU_DEP_1)
	v_lshlrev_b32_e32 v2, 4, v2
	v_add_lshl_u32 v5, v2, v1, 2
	ds_bpermute_b32 v2, v5, v3
	ds_bpermute_b32 v5, v5, v4
	s_waitcnt lgkmcnt(1)
	v_cmp_lt_f32_e64 s3, v3, v2
	v_cmpx_nlt_f32_e32 v3, v2
	s_cbranch_execz .LBB15_6
; %bb.5:
	v_cmp_eq_f32_e32 vcc_lo, v3, v2
	s_waitcnt lgkmcnt(0)
	v_cmp_lt_u32_e64 s2, v5, v4
	s_and_not1_b32 s3, s3, exec_lo
	s_delay_alu instid0(VALU_DEP_1) | instskip(NEXT) | instid1(SALU_CYCLE_1)
	s_and_b32 s2, vcc_lo, s2
	s_and_b32 s2, s2, exec_lo
	s_delay_alu instid0(SALU_CYCLE_1)
	s_or_b32 s3, s3, s2
.LBB15_6:
	s_or_b32 exec_lo, exec_lo, s4
	s_delay_alu instid0(VALU_DEP_2)
	s_and_saveexec_b32 s2, s3
	s_cbranch_execz .LBB15_8
; %bb.7:
	s_waitcnt lgkmcnt(0)
	v_dual_mov_b32 v3, v2 :: v_dual_mov_b32 v4, v5
.LBB15_8:
	s_or_b32 exec_lo, exec_lo, s2
	v_cmp_gt_u32_e32 vcc_lo, 24, v1
	s_mov_b32 s4, exec_lo
	v_cndmask_b32_e64 v2, 0, 1, vcc_lo
	s_delay_alu instid0(VALU_DEP_1) | instskip(SKIP_1) | instid1(VALU_DEP_1)
	v_lshlrev_b32_e32 v2, 3, v2
	s_waitcnt lgkmcnt(0)
	v_add_lshl_u32 v5, v2, v1, 2
	ds_bpermute_b32 v2, v5, v3
	ds_bpermute_b32 v5, v5, v4
	s_waitcnt lgkmcnt(1)
	v_cmp_lt_f32_e64 s3, v3, v2
	v_cmpx_nlt_f32_e32 v3, v2
	s_cbranch_execz .LBB15_10
; %bb.9:
	v_cmp_eq_f32_e32 vcc_lo, v3, v2
	s_waitcnt lgkmcnt(0)
	v_cmp_lt_u32_e64 s2, v5, v4
	s_and_not1_b32 s3, s3, exec_lo
	s_delay_alu instid0(VALU_DEP_1) | instskip(NEXT) | instid1(SALU_CYCLE_1)
	s_and_b32 s2, vcc_lo, s2
	s_and_b32 s2, s2, exec_lo
	s_delay_alu instid0(SALU_CYCLE_1)
	s_or_b32 s3, s3, s2
.LBB15_10:
	s_or_b32 exec_lo, exec_lo, s4
	s_delay_alu instid0(VALU_DEP_2)
	s_and_saveexec_b32 s2, s3
	s_cbranch_execz .LBB15_12
; %bb.11:
	s_waitcnt lgkmcnt(0)
	v_dual_mov_b32 v3, v2 :: v_dual_mov_b32 v4, v5
.LBB15_12:
	s_or_b32 exec_lo, exec_lo, s2
	v_cmp_gt_u32_e32 vcc_lo, 28, v1
	s_mov_b32 s4, exec_lo
	v_cndmask_b32_e64 v2, 0, 1, vcc_lo
	s_delay_alu instid0(VALU_DEP_1) | instskip(SKIP_1) | instid1(VALU_DEP_1)
	v_lshlrev_b32_e32 v2, 2, v2
	s_waitcnt lgkmcnt(0)
	v_add_lshl_u32 v5, v2, v1, 2
	ds_bpermute_b32 v2, v5, v3
	ds_bpermute_b32 v5, v5, v4
	s_waitcnt lgkmcnt(1)
	v_cmp_lt_f32_e64 s3, v3, v2
	v_cmpx_nlt_f32_e32 v3, v2
	s_cbranch_execz .LBB15_14
; %bb.13:
	v_cmp_eq_f32_e32 vcc_lo, v3, v2
	s_waitcnt lgkmcnt(0)
	v_cmp_lt_u32_e64 s2, v5, v4
	s_and_not1_b32 s3, s3, exec_lo
	s_delay_alu instid0(VALU_DEP_1) | instskip(NEXT) | instid1(SALU_CYCLE_1)
	s_and_b32 s2, vcc_lo, s2
	s_and_b32 s2, s2, exec_lo
	s_delay_alu instid0(SALU_CYCLE_1)
	s_or_b32 s3, s3, s2
.LBB15_14:
	s_or_b32 exec_lo, exec_lo, s4
	s_delay_alu instid0(VALU_DEP_2)
	s_and_saveexec_b32 s2, s3
	s_cbranch_execz .LBB15_16
; %bb.15:
	s_waitcnt lgkmcnt(0)
	v_dual_mov_b32 v3, v2 :: v_dual_mov_b32 v4, v5
.LBB15_16:
	s_or_b32 exec_lo, exec_lo, s2
	v_cmp_gt_u32_e32 vcc_lo, 30, v1
	s_mov_b32 s4, exec_lo
	v_cndmask_b32_e64 v2, 0, 1, vcc_lo
	s_delay_alu instid0(VALU_DEP_1) | instskip(SKIP_1) | instid1(VALU_DEP_1)
	v_lshlrev_b32_e32 v2, 1, v2
	s_waitcnt lgkmcnt(0)
	v_add_lshl_u32 v5, v2, v1, 2
	ds_bpermute_b32 v2, v5, v3
	ds_bpermute_b32 v5, v5, v4
	s_waitcnt lgkmcnt(1)
	v_cmp_lt_f32_e64 s3, v3, v2
	v_cmpx_nlt_f32_e32 v3, v2
	s_cbranch_execz .LBB15_18
; %bb.17:
	v_cmp_eq_f32_e32 vcc_lo, v3, v2
	s_waitcnt lgkmcnt(0)
	v_cmp_lt_u32_e64 s2, v5, v4
	s_and_not1_b32 s3, s3, exec_lo
	s_delay_alu instid0(VALU_DEP_1) | instskip(NEXT) | instid1(SALU_CYCLE_1)
	s_and_b32 s2, vcc_lo, s2
	s_and_b32 s2, s2, exec_lo
	s_delay_alu instid0(SALU_CYCLE_1)
	s_or_b32 s3, s3, s2
.LBB15_18:
	s_or_b32 exec_lo, exec_lo, s4
	s_delay_alu instid0(VALU_DEP_2)
	s_and_saveexec_b32 s2, s3
	s_cbranch_execz .LBB15_20
; %bb.19:
	s_waitcnt lgkmcnt(0)
	v_dual_mov_b32 v3, v2 :: v_dual_mov_b32 v4, v5
.LBB15_20:
	s_or_b32 exec_lo, exec_lo, s2
	v_cmp_ne_u32_e32 vcc_lo, 31, v1
	s_mov_b32 s4, exec_lo
	v_add_co_ci_u32_e32 v1, vcc_lo, 0, v1, vcc_lo
	s_delay_alu instid0(VALU_DEP_1)
	v_lshlrev_b32_e32 v2, 2, v1
	ds_bpermute_b32 v1, v2, v3
	ds_bpermute_b32 v2, v2, v4
	s_waitcnt lgkmcnt(1)
	v_cmp_lt_f32_e64 s3, v3, v1
	v_cmpx_nlt_f32_e32 v3, v1
	s_cbranch_execz .LBB15_22
; %bb.21:
	v_cmp_eq_f32_e32 vcc_lo, v3, v1
	s_waitcnt lgkmcnt(0)
	v_cmp_lt_u32_e64 s2, v2, v4
	s_and_not1_b32 s3, s3, exec_lo
	s_delay_alu instid0(VALU_DEP_1) | instskip(NEXT) | instid1(SALU_CYCLE_1)
	s_and_b32 s2, vcc_lo, s2
	s_and_b32 s2, s2, exec_lo
	s_delay_alu instid0(SALU_CYCLE_1)
	s_or_b32 s3, s3, s2
.LBB15_22:
	s_or_b32 exec_lo, exec_lo, s4
	s_delay_alu instid0(VALU_DEP_2)
	s_and_saveexec_b32 s2, s3
	s_cbranch_execz .LBB15_24
; %bb.23:
	s_waitcnt lgkmcnt(0)
	v_dual_mov_b32 v4, v2 :: v_dual_mov_b32 v3, v1
.LBB15_24:
	s_or_b32 exec_lo, exec_lo, s2
	v_and_b32_e32 v1, 31, v0
	s_mov_b32 s2, exec_lo
	s_delay_alu instid0(VALU_DEP_1)
	v_cmpx_eq_u32_e32 0, v1
	s_cbranch_execz .LBB15_26
; %bb.25:
	v_lshrrev_b32_e32 v1, 3, v0
	ds_store_2addr_b32 v1, v4, v3 offset1:32
.LBB15_26:
	s_or_b32 exec_lo, exec_lo, s2
	s_waitcnt lgkmcnt(0)
	s_barrier
	buffer_gl0_inv
	s_mov_b32 s2, exec_lo
	v_cmpx_eq_u32_e32 0, v0
	s_cbranch_execz .LBB15_67
; %bb.27:
	v_mov_b32_e32 v1, 0
	s_load_b32 s0, s[0:1], 0x24
	ds_load_b32 v0, v1
	s_waitcnt lgkmcnt(0)
	s_and_b32 s0, s0, 0xffff
	s_delay_alu instid0(SALU_CYCLE_1)
	s_cmp_lt_u32 s0, 33
	s_cbranch_scc1 .LBB15_66
; %bb.28:
	ds_load_b32 v1, v1 offset:128
	s_add_i32 s0, s0, 31
	s_delay_alu instid0(SALU_CYCLE_1) | instskip(NEXT) | instid1(SALU_CYCLE_1)
	s_lshr_b32 s0, s0, 5
	s_add_i32 s1, s0, -2
	s_add_i32 s0, s0, -1
	s_cmp_lt_u32 s1, 3
	s_cbranch_scc1 .LBB15_56
; %bb.29:
	s_and_b32 s1, s0, -4
	s_mov_b32 s3, 0
	s_mov_b32 s2, 4
.LBB15_30:                              ; =>This Inner Loop Header: Depth=1
	s_delay_alu instid0(SALU_CYCLE_1)
	v_mov_b32_e32 v2, s2
	ds_load_b32 v2, v2 offset:128
	s_waitcnt lgkmcnt(0)
	v_cmp_ngt_f32_e32 vcc_lo, v2, v1
	s_cbranch_vccz .LBB15_34
; %bb.31:                               ;   in Loop: Header=BB15_30 Depth=1
	v_cmp_neq_f32_e32 vcc_lo, v2, v1
	s_cbranch_vccnz .LBB15_33
; %bb.32:                               ;   in Loop: Header=BB15_30 Depth=1
	v_mov_b32_e32 v3, s2
	ds_load_b32 v3, v3
	s_waitcnt lgkmcnt(0)
	v_cmp_lt_u32_e32 vcc_lo, v3, v0
	v_min_u32_e32 v0, v3, v0
	v_cndmask_b32_e32 v1, v1, v2, vcc_lo
.LBB15_33:                              ;   in Loop: Header=BB15_30 Depth=1
	s_cbranch_execz .LBB15_35
	s_branch .LBB15_36
.LBB15_34:                              ;   in Loop: Header=BB15_30 Depth=1
                                        ; implicit-def: $vgpr0
                                        ; implicit-def: $vgpr1
.LBB15_35:                              ;   in Loop: Header=BB15_30 Depth=1
	v_dual_mov_b32 v0, s2 :: v_dual_mov_b32 v1, v2
	ds_load_b32 v0, v0
.LBB15_36:                              ;   in Loop: Header=BB15_30 Depth=1
	v_mov_b32_e32 v2, s2
	ds_load_b32 v2, v2 offset:132
	s_waitcnt lgkmcnt(0)
	v_cmp_gt_f32_e32 vcc_lo, v2, v1
	s_cbranch_vccnz .LBB15_40
; %bb.37:                               ;   in Loop: Header=BB15_30 Depth=1
	v_cmp_neq_f32_e32 vcc_lo, v2, v1
	s_cbranch_vccnz .LBB15_39
; %bb.38:                               ;   in Loop: Header=BB15_30 Depth=1
	v_mov_b32_e32 v3, s2
	ds_load_b32 v3, v3 offset:4
	s_waitcnt lgkmcnt(0)
	v_cmp_lt_u32_e32 vcc_lo, v3, v0
	v_min_u32_e32 v0, v3, v0
	v_cndmask_b32_e32 v1, v1, v2, vcc_lo
.LBB15_39:                              ;   in Loop: Header=BB15_30 Depth=1
	s_cbranch_execz .LBB15_41
	s_branch .LBB15_42
.LBB15_40:                              ;   in Loop: Header=BB15_30 Depth=1
                                        ; implicit-def: $vgpr0
                                        ; implicit-def: $vgpr1
.LBB15_41:                              ;   in Loop: Header=BB15_30 Depth=1
	v_dual_mov_b32 v0, s2 :: v_dual_mov_b32 v1, v2
	ds_load_b32 v0, v0 offset:4
.LBB15_42:                              ;   in Loop: Header=BB15_30 Depth=1
	v_mov_b32_e32 v2, s2
	ds_load_b32 v2, v2 offset:136
	s_waitcnt lgkmcnt(0)
	v_cmp_gt_f32_e32 vcc_lo, v2, v1
	s_cbranch_vccnz .LBB15_46
; %bb.43:                               ;   in Loop: Header=BB15_30 Depth=1
	v_cmp_neq_f32_e32 vcc_lo, v2, v1
	s_cbranch_vccnz .LBB15_45
; %bb.44:                               ;   in Loop: Header=BB15_30 Depth=1
	v_mov_b32_e32 v3, s2
	ds_load_b32 v3, v3 offset:8
	s_waitcnt lgkmcnt(0)
	v_cmp_lt_u32_e32 vcc_lo, v3, v0
	v_min_u32_e32 v0, v3, v0
	v_cndmask_b32_e32 v1, v1, v2, vcc_lo
.LBB15_45:                              ;   in Loop: Header=BB15_30 Depth=1
	s_cbranch_execz .LBB15_47
	s_branch .LBB15_48
.LBB15_46:                              ;   in Loop: Header=BB15_30 Depth=1
                                        ; implicit-def: $vgpr0
                                        ; implicit-def: $vgpr1
.LBB15_47:                              ;   in Loop: Header=BB15_30 Depth=1
	v_dual_mov_b32 v0, s2 :: v_dual_mov_b32 v1, v2
	ds_load_b32 v0, v0 offset:8
.LBB15_48:                              ;   in Loop: Header=BB15_30 Depth=1
	;; [unrolled: 25-line block ×3, first 2 shown]
	s_add_i32 s4, s3, 4
	s_add_i32 s2, s2, 16
	s_cmp_eq_u32 s1, s4
	s_cbranch_scc1 .LBB15_57
; %bb.55:                               ;   in Loop: Header=BB15_30 Depth=1
	s_mov_b32 s3, s4
	s_branch .LBB15_30
.LBB15_56:
	s_mov_b32 s1, 1
	s_and_b32 s0, s0, 3
	s_delay_alu instid0(SALU_CYCLE_1)
	s_cmp_eq_u32 s0, 0
	s_cbranch_scc0 .LBB15_58
	s_branch .LBB15_66
.LBB15_57:
	s_add_i32 s1, s3, 5
	s_and_b32 s0, s0, 3
	s_delay_alu instid0(SALU_CYCLE_1)
	s_cmp_eq_u32 s0, 0
	s_cbranch_scc1 .LBB15_66
.LBB15_58:
	s_lshl_b32 s1, s1, 2
	s_set_inst_prefetch_distance 0x1
	s_branch .LBB15_60
	.p2align	6
.LBB15_59:                              ;   in Loop: Header=BB15_60 Depth=1
	s_add_i32 s0, s0, -1
	s_add_i32 s1, s1, 4
	s_cmp_lg_u32 s0, 0
	s_cbranch_scc0 .LBB15_66
.LBB15_60:                              ; =>This Inner Loop Header: Depth=1
	v_mov_b32_e32 v2, s1
	ds_load_b32 v2, v2 offset:128
	s_waitcnt lgkmcnt(0)
	v_cmp_gt_f32_e32 vcc_lo, v2, v1
	s_cbranch_vccnz .LBB15_64
; %bb.61:                               ;   in Loop: Header=BB15_60 Depth=1
	v_cmp_neq_f32_e32 vcc_lo, v2, v1
	s_cbranch_vccnz .LBB15_63
; %bb.62:                               ;   in Loop: Header=BB15_60 Depth=1
	v_mov_b32_e32 v3, s1
	ds_load_b32 v3, v3
	s_waitcnt lgkmcnt(0)
	v_cmp_lt_u32_e32 vcc_lo, v3, v0
	v_min_u32_e32 v0, v3, v0
	v_cndmask_b32_e32 v1, v1, v2, vcc_lo
.LBB15_63:                              ;   in Loop: Header=BB15_60 Depth=1
	s_cbranch_execnz .LBB15_59
	s_branch .LBB15_65
	.p2align	6
.LBB15_64:                              ;   in Loop: Header=BB15_60 Depth=1
                                        ; implicit-def: $vgpr0
                                        ; implicit-def: $vgpr1
.LBB15_65:                              ;   in Loop: Header=BB15_60 Depth=1
	v_dual_mov_b32 v0, s1 :: v_dual_mov_b32 v1, v2
	ds_load_b32 v0, v0
	s_branch .LBB15_59
.LBB15_66:
	s_set_inst_prefetch_distance 0x2
	s_waitcnt lgkmcnt(0)
	v_mov_b32_e32 v1, 0
	global_store_b32 v1, v0, s[6:7]
.LBB15_67:
	s_nop 0
	s_sendmsg sendmsg(MSG_DEALLOC_VGPRS)
	s_endpgm
	.section	.rodata,"a",@progbits
	.p2align	6, 0x0
	.amdhsa_kernel argmax
		.amdhsa_group_segment_fixed_size 256
		.amdhsa_private_segment_fixed_size 0
		.amdhsa_kernarg_size 280
		.amdhsa_user_sgpr_count 15
		.amdhsa_user_sgpr_dispatch_ptr 0
		.amdhsa_user_sgpr_queue_ptr 0
		.amdhsa_user_sgpr_kernarg_segment_ptr 1
		.amdhsa_user_sgpr_dispatch_id 0
		.amdhsa_user_sgpr_private_segment_size 0
		.amdhsa_wavefront_size32 1
		.amdhsa_uses_dynamic_stack 0
		.amdhsa_enable_private_segment 0
		.amdhsa_system_sgpr_workgroup_id_x 1
		.amdhsa_system_sgpr_workgroup_id_y 0
		.amdhsa_system_sgpr_workgroup_id_z 0
		.amdhsa_system_sgpr_workgroup_info 0
		.amdhsa_system_vgpr_workitem_id 0
		.amdhsa_next_free_vgpr 7
		.amdhsa_next_free_sgpr 11
		.amdhsa_reserve_vcc 1
		.amdhsa_float_round_mode_32 0
		.amdhsa_float_round_mode_16_64 0
		.amdhsa_float_denorm_mode_32 3
		.amdhsa_float_denorm_mode_16_64 3
		.amdhsa_dx10_clamp 1
		.amdhsa_ieee_mode 1
		.amdhsa_fp16_overflow 0
		.amdhsa_workgroup_processor_mode 1
		.amdhsa_memory_ordered 1
		.amdhsa_forward_progress 0
		.amdhsa_shared_vgpr_count 0
		.amdhsa_exception_fp_ieee_invalid_op 0
		.amdhsa_exception_fp_denorm_src 0
		.amdhsa_exception_fp_ieee_div_zero 0
		.amdhsa_exception_fp_ieee_overflow 0
		.amdhsa_exception_fp_ieee_underflow 0
		.amdhsa_exception_fp_ieee_inexact 0
		.amdhsa_exception_int_div_zero 0
	.end_amdhsa_kernel
	.text
.Lfunc_end15:
	.size	argmax, .Lfunc_end15-argmax
                                        ; -- End function
	.section	.AMDGPU.csdata,"",@progbits
; Kernel info:
; codeLenInByte = 1612
; NumSgprs: 13
; NumVgprs: 7
; ScratchSize: 0
; MemoryBound: 0
; FloatMode: 240
; IeeeMode: 1
; LDSByteSize: 256 bytes/workgroup (compile time only)
; SGPRBlocks: 1
; VGPRBlocks: 0
; NumSGPRsForWavesPerEU: 13
; NumVGPRsForWavesPerEU: 7
; Occupancy: 16
; WaveLimiterHint : 0
; COMPUTE_PGM_RSRC2:SCRATCH_EN: 0
; COMPUTE_PGM_RSRC2:USER_SGPR: 15
; COMPUTE_PGM_RSRC2:TRAP_HANDLER: 0
; COMPUTE_PGM_RSRC2:TGID_X_EN: 1
; COMPUTE_PGM_RSRC2:TGID_Y_EN: 0
; COMPUTE_PGM_RSRC2:TGID_Z_EN: 0
; COMPUTE_PGM_RSRC2:TIDIG_COMP_CNT: 0
	.text
	.protected	moe_weighted_acc        ; -- Begin function moe_weighted_acc
	.globl	moe_weighted_acc
	.p2align	8
	.type	moe_weighted_acc,@function
moe_weighted_acc:                       ; @moe_weighted_acc
; %bb.0:
	s_clause 0x1
	s_load_b32 s2, s[0:1], 0x34
	s_load_b128 s[8:11], s[0:1], 0x18
	s_waitcnt lgkmcnt(0)
	s_and_b32 s2, s2, 0xffff
	s_delay_alu instid0(SALU_CYCLE_1) | instskip(SKIP_1) | instid1(VALU_DEP_1)
	v_mad_u64_u32 v[1:2], null, s15, s2, v[0:1]
	s_mov_b32 s2, exec_lo
	v_cmpx_gt_u32_e64 s8, v1
	s_cbranch_execz .LBB16_7
; %bb.1:
	s_clause 0x1
	s_load_b128 s[4:7], s[0:1], 0x0
	s_load_b64 s[0:1], s[0:1], 0x10
	s_cmp_lg_u32 s9, 0
	s_mov_b32 s11, 0
	s_cbranch_scc0 .LBB16_8
; %bb.2:
	v_mov_b32_e32 v2, 0
	s_lshl_b64 s[2:3], s[10:11], 2
	s_delay_alu instid0(VALU_DEP_1) | instskip(SKIP_2) | instid1(VALU_DEP_2)
	v_lshlrev_b64 v[5:6], 2, v[1:2]
	v_dual_mov_b32 v4, v2 :: v_dual_mov_b32 v3, v1
	s_waitcnt lgkmcnt(0)
	v_add_co_u32 v5, vcc_lo, s6, v5
	s_delay_alu instid0(VALU_DEP_3)
	v_add_co_ci_u32_e32 v6, vcc_lo, s7, v6, vcc_lo
	s_mov_b32 s6, 0
.LBB16_3:                               ; =>This Inner Loop Header: Depth=1
	global_load_b32 v0, v[5:6], off
	s_add_i32 s10, s9, s6
	v_add_co_u32 v5, vcc_lo, v5, s2
	s_lshl_b64 s[12:13], s[10:11], 2
	v_add_co_ci_u32_e32 v6, vcc_lo, s3, v6, vcc_lo
	s_add_u32 s12, s0, s12
	s_addc_u32 s13, s1, s13
	s_add_i32 s6, s6, 1
	s_load_b32 s7, s[12:13], 0x0
	s_cmp_eq_u32 s9, s6
	s_waitcnt vmcnt(0) lgkmcnt(0)
	v_fmac_f32_e32 v2, s7, v0
	s_cbranch_scc0 .LBB16_3
; %bb.4:
	s_branch .LBB16_6
.LBB16_5:
	v_mov_b32_e32 v2, 0
	s_delay_alu instid0(VALU_DEP_1)
	v_dual_mov_b32 v4, v2 :: v_dual_mov_b32 v3, v1
.LBB16_6:
	s_delay_alu instid0(VALU_DEP_1) | instskip(NEXT) | instid1(VALU_DEP_1)
	v_lshlrev_b64 v[0:1], 2, v[3:4]
	v_add_co_u32 v0, vcc_lo, s4, v0
	s_delay_alu instid0(VALU_DEP_2)
	v_add_co_ci_u32_e32 v1, vcc_lo, s5, v1, vcc_lo
	global_load_b32 v3, v[0:1], off
	s_waitcnt vmcnt(0)
	v_add_f32_e32 v2, v2, v3
	global_store_b32 v[0:1], v2, off
.LBB16_7:
	s_nop 0
	s_sendmsg sendmsg(MSG_DEALLOC_VGPRS)
	s_endpgm
.LBB16_8:
	s_waitcnt lgkmcnt(0)
                                        ; implicit-def: $vgpr3_vgpr4
	s_cbranch_execnz .LBB16_5
	s_branch .LBB16_6
	.section	.rodata,"a",@progbits
	.p2align	6, 0x0
	.amdhsa_kernel moe_weighted_acc
		.amdhsa_group_segment_fixed_size 0
		.amdhsa_private_segment_fixed_size 0
		.amdhsa_kernarg_size 296
		.amdhsa_user_sgpr_count 15
		.amdhsa_user_sgpr_dispatch_ptr 0
		.amdhsa_user_sgpr_queue_ptr 0
		.amdhsa_user_sgpr_kernarg_segment_ptr 1
		.amdhsa_user_sgpr_dispatch_id 0
		.amdhsa_user_sgpr_private_segment_size 0
		.amdhsa_wavefront_size32 1
		.amdhsa_uses_dynamic_stack 0
		.amdhsa_enable_private_segment 0
		.amdhsa_system_sgpr_workgroup_id_x 1
		.amdhsa_system_sgpr_workgroup_id_y 0
		.amdhsa_system_sgpr_workgroup_id_z 0
		.amdhsa_system_sgpr_workgroup_info 0
		.amdhsa_system_vgpr_workitem_id 0
		.amdhsa_next_free_vgpr 7
		.amdhsa_next_free_sgpr 16
		.amdhsa_reserve_vcc 1
		.amdhsa_float_round_mode_32 0
		.amdhsa_float_round_mode_16_64 0
		.amdhsa_float_denorm_mode_32 3
		.amdhsa_float_denorm_mode_16_64 3
		.amdhsa_dx10_clamp 1
		.amdhsa_ieee_mode 1
		.amdhsa_fp16_overflow 0
		.amdhsa_workgroup_processor_mode 1
		.amdhsa_memory_ordered 1
		.amdhsa_forward_progress 0
		.amdhsa_shared_vgpr_count 0
		.amdhsa_exception_fp_ieee_invalid_op 0
		.amdhsa_exception_fp_denorm_src 0
		.amdhsa_exception_fp_ieee_div_zero 0
		.amdhsa_exception_fp_ieee_overflow 0
		.amdhsa_exception_fp_ieee_underflow 0
		.amdhsa_exception_fp_ieee_inexact 0
		.amdhsa_exception_int_div_zero 0
	.end_amdhsa_kernel
	.text
.Lfunc_end16:
	.size	moe_weighted_acc, .Lfunc_end16-moe_weighted_acc
                                        ; -- End function
	.section	.AMDGPU.csdata,"",@progbits
; Kernel info:
; codeLenInByte = 304
; NumSgprs: 18
; NumVgprs: 7
; ScratchSize: 0
; MemoryBound: 0
; FloatMode: 240
; IeeeMode: 1
; LDSByteSize: 0 bytes/workgroup (compile time only)
; SGPRBlocks: 2
; VGPRBlocks: 0
; NumSGPRsForWavesPerEU: 18
; NumVGPRsForWavesPerEU: 7
; Occupancy: 16
; WaveLimiterHint : 0
; COMPUTE_PGM_RSRC2:SCRATCH_EN: 0
; COMPUTE_PGM_RSRC2:USER_SGPR: 15
; COMPUTE_PGM_RSRC2:TRAP_HANDLER: 0
; COMPUTE_PGM_RSRC2:TGID_X_EN: 1
; COMPUTE_PGM_RSRC2:TGID_Y_EN: 0
; COMPUTE_PGM_RSRC2:TGID_Z_EN: 0
; COMPUTE_PGM_RSRC2:TIDIG_COMP_CNT: 0
	.text
	.protected	moe_weighted_acc_scaled ; -- Begin function moe_weighted_acc_scaled
	.globl	moe_weighted_acc_scaled
	.p2align	8
	.type	moe_weighted_acc_scaled,@function
moe_weighted_acc_scaled:                ; @moe_weighted_acc_scaled
; %bb.0:
	s_clause 0x1
	s_load_b32 s2, s[0:1], 0x3c
	s_load_b128 s[8:11], s[0:1], 0x20
	s_waitcnt lgkmcnt(0)
	s_and_b32 s2, s2, 0xffff
	s_delay_alu instid0(SALU_CYCLE_1) | instskip(SKIP_1) | instid1(VALU_DEP_1)
	v_mad_u64_u32 v[1:2], null, s15, s2, v[0:1]
	s_mov_b32 s2, exec_lo
	v_cmpx_gt_u32_e64 s8, v1
	s_cbranch_execz .LBB17_7
; %bb.1:
	s_load_b256 s[0:7], s[0:1], 0x0
	s_cmp_lg_u32 s9, 0
	s_mov_b32 s11, 0
	s_cbranch_scc0 .LBB17_8
; %bb.2:
	v_mov_b32_e32 v2, 0
	s_waitcnt lgkmcnt(0)
	s_mov_b64 s[12:13], s[4:5]
	s_mov_b32 s8, 0
	s_delay_alu instid0(VALU_DEP_1) | instskip(SKIP_1) | instid1(VALU_DEP_2)
	v_lshlrev_b64 v[5:6], 2, v[1:2]
	v_dual_mov_b32 v4, v2 :: v_dual_mov_b32 v3, v1
	v_add_co_u32 v5, vcc_lo, s2, v5
	s_delay_alu instid0(VALU_DEP_3)
	v_add_co_ci_u32_e32 v6, vcc_lo, s3, v6, vcc_lo
	s_lshl_b64 s[2:3], s[10:11], 2
	.p2align	6
.LBB17_3:                               ; =>This Inner Loop Header: Depth=1
	global_load_b32 v0, v[5:6], off
	s_add_i32 s10, s9, s8
	v_add_co_u32 v5, vcc_lo, v5, s2
	s_lshl_b64 s[14:15], s[10:11], 2
	s_load_b32 s10, s[12:13], 0x0
	s_add_u32 s14, s4, s14
	s_addc_u32 s15, s5, s15
	v_add_co_ci_u32_e32 v6, vcc_lo, s3, v6, vcc_lo
	s_waitcnt lgkmcnt(0)
	s_lshl_b64 s[16:17], s[10:11], 2
	s_delay_alu instid0(SALU_CYCLE_1)
	s_add_u32 s16, s6, s16
	s_addc_u32 s17, s7, s17
	s_load_b32 s10, s[14:15], 0x0
	s_load_b32 s14, s[16:17], 0x0
	s_add_i32 s8, s8, 1
	s_add_u32 s12, s12, 4
	s_addc_u32 s13, s13, 0
	s_cmp_eq_u32 s9, s8
	s_waitcnt lgkmcnt(0)
	v_mul_f32_e64 v7, s10, s14
	s_waitcnt vmcnt(0)
	s_delay_alu instid0(VALU_DEP_1)
	v_fmac_f32_e32 v2, v7, v0
	s_cbranch_scc0 .LBB17_3
; %bb.4:
	s_branch .LBB17_6
.LBB17_5:
	v_mov_b32_e32 v2, 0
	s_delay_alu instid0(VALU_DEP_1)
	v_dual_mov_b32 v4, v2 :: v_dual_mov_b32 v3, v1
.LBB17_6:
	s_delay_alu instid0(VALU_DEP_1) | instskip(NEXT) | instid1(VALU_DEP_1)
	v_lshlrev_b64 v[0:1], 2, v[3:4]
	v_add_co_u32 v0, vcc_lo, s0, v0
	s_delay_alu instid0(VALU_DEP_2)
	v_add_co_ci_u32_e32 v1, vcc_lo, s1, v1, vcc_lo
	global_load_b32 v3, v[0:1], off
	s_waitcnt vmcnt(0)
	v_add_f32_e32 v2, v2, v3
	global_store_b32 v[0:1], v2, off
.LBB17_7:
	s_nop 0
	s_sendmsg sendmsg(MSG_DEALLOC_VGPRS)
	s_endpgm
.LBB17_8:
	s_waitcnt lgkmcnt(0)
                                        ; implicit-def: $vgpr3_vgpr4
	s_cbranch_execnz .LBB17_5
	s_branch .LBB17_6
	.section	.rodata,"a",@progbits
	.p2align	6, 0x0
	.amdhsa_kernel moe_weighted_acc_scaled
		.amdhsa_group_segment_fixed_size 0
		.amdhsa_private_segment_fixed_size 0
		.amdhsa_kernarg_size 304
		.amdhsa_user_sgpr_count 15
		.amdhsa_user_sgpr_dispatch_ptr 0
		.amdhsa_user_sgpr_queue_ptr 0
		.amdhsa_user_sgpr_kernarg_segment_ptr 1
		.amdhsa_user_sgpr_dispatch_id 0
		.amdhsa_user_sgpr_private_segment_size 0
		.amdhsa_wavefront_size32 1
		.amdhsa_uses_dynamic_stack 0
		.amdhsa_enable_private_segment 0
		.amdhsa_system_sgpr_workgroup_id_x 1
		.amdhsa_system_sgpr_workgroup_id_y 0
		.amdhsa_system_sgpr_workgroup_id_z 0
		.amdhsa_system_sgpr_workgroup_info 0
		.amdhsa_system_vgpr_workitem_id 0
		.amdhsa_next_free_vgpr 8
		.amdhsa_next_free_sgpr 18
		.amdhsa_reserve_vcc 1
		.amdhsa_float_round_mode_32 0
		.amdhsa_float_round_mode_16_64 0
		.amdhsa_float_denorm_mode_32 3
		.amdhsa_float_denorm_mode_16_64 3
		.amdhsa_dx10_clamp 1
		.amdhsa_ieee_mode 1
		.amdhsa_fp16_overflow 0
		.amdhsa_workgroup_processor_mode 1
		.amdhsa_memory_ordered 1
		.amdhsa_forward_progress 0
		.amdhsa_shared_vgpr_count 0
		.amdhsa_exception_fp_ieee_invalid_op 0
		.amdhsa_exception_fp_denorm_src 0
		.amdhsa_exception_fp_ieee_div_zero 0
		.amdhsa_exception_fp_ieee_overflow 0
		.amdhsa_exception_fp_ieee_underflow 0
		.amdhsa_exception_fp_ieee_inexact 0
		.amdhsa_exception_int_div_zero 0
	.end_amdhsa_kernel
	.text
.Lfunc_end17:
	.size	moe_weighted_acc_scaled, .Lfunc_end17-moe_weighted_acc_scaled
                                        ; -- End function
	.section	.AMDGPU.csdata,"",@progbits
; Kernel info:
; codeLenInByte = 356
; NumSgprs: 20
; NumVgprs: 8
; ScratchSize: 0
; MemoryBound: 0
; FloatMode: 240
; IeeeMode: 1
; LDSByteSize: 0 bytes/workgroup (compile time only)
; SGPRBlocks: 2
; VGPRBlocks: 0
; NumSGPRsForWavesPerEU: 20
; NumVGPRsForWavesPerEU: 8
; Occupancy: 16
; WaveLimiterHint : 1
; COMPUTE_PGM_RSRC2:SCRATCH_EN: 0
; COMPUTE_PGM_RSRC2:USER_SGPR: 15
; COMPUTE_PGM_RSRC2:TRAP_HANDLER: 0
; COMPUTE_PGM_RSRC2:TGID_X_EN: 1
; COMPUTE_PGM_RSRC2:TGID_Y_EN: 0
; COMPUTE_PGM_RSRC2:TGID_Z_EN: 0
; COMPUTE_PGM_RSRC2:TIDIG_COMP_CNT: 0
	.text
	.protected	ssm_conv1d              ; -- Begin function ssm_conv1d
	.globl	ssm_conv1d
	.p2align	8
	.type	ssm_conv1d,@function
ssm_conv1d:                             ; @ssm_conv1d
; %bb.0:
	s_clause 0x1
	s_load_b32 s2, s[0:1], 0x3c
	s_load_b128 s[8:11], s[0:1], 0x20
	s_waitcnt lgkmcnt(0)
	s_and_b32 s2, s2, 0xffff
	s_delay_alu instid0(SALU_CYCLE_1) | instskip(SKIP_1) | instid1(VALU_DEP_1)
	v_mad_u64_u32 v[2:3], null, s15, s2, v[0:1]
	s_mov_b32 s2, exec_lo
	v_cmpx_gt_u32_e64 s8, v2
	s_cbranch_execz .LBB18_23
; %bb.1:
	s_load_b256 s[0:7], s[0:1], 0x0
	v_mov_b32_e32 v3, 0
	s_cmp_lg_u32 s9, 0
	s_delay_alu instid0(VALU_DEP_1) | instskip(SKIP_1) | instid1(VALU_DEP_1)
	v_lshlrev_b64 v[0:1], 2, v[2:3]
	s_waitcnt lgkmcnt(0)
	v_add_co_u32 v4, vcc_lo, s0, v0
	s_delay_alu instid0(VALU_DEP_2)
	v_add_co_ci_u32_e32 v5, vcc_lo, s1, v1, vcc_lo
	s_mov_b32 s1, 0
	global_load_b32 v4, v[4:5], off
	s_cbranch_scc0 .LBB18_24
; %bb.2:
	v_mul_lo_u32 v8, v2, s9
	v_add_co_u32 v6, vcc_lo, s4, v0
	s_add_i32 s12, s9, -1
	v_add_co_ci_u32_e32 v7, vcc_lo, s5, v1, vcc_lo
	v_mov_b32_e32 v5, 0
	s_cmp_lg_u32 s10, 0
	s_mov_b32 s0, s8
	s_cselect_b32 s10, -1, 0
	s_mov_b32 s13, s1
	s_branch .LBB18_4
.LBB18_3:                               ;   in Loop: Header=BB18_4 Depth=1
	s_waitcnt vmcnt(0)
	s_delay_alu instid0(VALU_DEP_1) | instskip(SKIP_1) | instid1(SALU_CYCLE_1)
	v_fmac_f32_e32 v5, v9, v2
	s_add_i32 s13, s13, 1
	s_cmp_eq_u32 s9, s13
	s_cbranch_scc1 .LBB18_20
.LBB18_4:                               ; =>This Inner Loop Header: Depth=1
	v_add_nc_u32_e32 v2, s13, v8
	s_and_not1_b32 vcc_lo, exec_lo, s10
	s_cbranch_vccnz .LBB18_19
; %bb.5:                                ;   in Loop: Header=BB18_4 Depth=1
	s_delay_alu instid0(VALU_DEP_1) | instskip(SKIP_1) | instid1(VALU_DEP_1)
	v_lshlrev_b64 v[9:10], 1, v[2:3]
	s_mov_b32 s14, exec_lo
	v_add_co_u32 v9, vcc_lo, s2, v9
	s_delay_alu instid0(VALU_DEP_2) | instskip(SKIP_4) | instid1(VALU_DEP_2)
	v_add_co_ci_u32_e32 v10, vcc_lo, s3, v10, vcc_lo
	global_load_u16 v10, v[9:10], off
	s_waitcnt vmcnt(0)
	v_lshrrev_b32_e32 v11, 15, v10
	v_bfe_u32 v12, v10, 10, 5
	v_lshlrev_b32_e32 v9, 31, v11
	s_delay_alu instid0(VALU_DEP_2)
	v_cmpx_lt_i32_e32 30, v12
	s_xor_b32 s14, exec_lo, s14
; %bb.6:                                ;   in Loop: Header=BB18_4 Depth=1
	v_lshlrev_b32_e32 v9, 31, v11
	v_lshlrev_b32_e32 v10, 13, v10
                                        ; implicit-def: $vgpr12
                                        ; implicit-def: $vgpr11
	s_delay_alu instid0(VALU_DEP_1)
	v_or3_b32 v9, v9, v10, 0x7f800000
                                        ; implicit-def: $vgpr10
; %bb.7:                                ;   in Loop: Header=BB18_4 Depth=1
	s_and_not1_saveexec_b32 s14, s14
	s_cbranch_execz .LBB18_15
; %bb.8:                                ;   in Loop: Header=BB18_4 Depth=1
	v_and_b32_e32 v13, 0x3ff, v10
	s_mov_b32 s15, exec_lo
	v_cmpx_ne_u32_e32 0, v12
	s_xor_b32 s15, exec_lo, s15
; %bb.9:                                ;   in Loop: Header=BB18_4 Depth=1
	v_lshlrev_b32_e32 v9, 31, v11
	v_lshlrev_b32_e32 v10, 23, v12
	;; [unrolled: 1-line block ×3, first 2 shown]
                                        ; implicit-def: $vgpr13
	s_delay_alu instid0(VALU_DEP_1) | instskip(NEXT) | instid1(VALU_DEP_1)
	v_or3_b32 v9, v10, v9, v11
                                        ; implicit-def: $vgpr10
                                        ; implicit-def: $vgpr11
	v_add_nc_u32_e32 v9, 0x38000000, v9
; %bb.10:                               ;   in Loop: Header=BB18_4 Depth=1
	s_and_not1_saveexec_b32 s15, s15
	s_cbranch_execz .LBB18_14
; %bb.11:                               ;   in Loop: Header=BB18_4 Depth=1
	s_mov_b32 s16, exec_lo
	v_cmpx_ne_u32_e32 0, v13
	s_xor_b32 s16, exec_lo, s16
; %bb.12:                               ;   in Loop: Header=BB18_4 Depth=1
	v_clz_i32_u32_e32 v9, v13
	v_lshlrev_b32_e32 v11, 31, v11
	s_delay_alu instid0(VALU_DEP_2) | instskip(SKIP_1) | instid1(VALU_DEP_2)
	v_xor_b32_e32 v12, 31, v9
	v_lshlrev_b32_e32 v9, 23, v9
	v_sub_nc_u32_e32 v12, 9, v12
	s_delay_alu instid0(VALU_DEP_1) | instskip(NEXT) | instid1(VALU_DEP_1)
	v_lshlrev_b32_e32 v10, v12, v10
	v_lshlrev_b32_e32 v10, 14, v10
	s_delay_alu instid0(VALU_DEP_1) | instskip(NEXT) | instid1(VALU_DEP_1)
	v_and_or_b32 v10, 0x7fc000, v10, v11
	v_sub_nc_u32_e32 v9, v10, v9
	s_delay_alu instid0(VALU_DEP_1)
	v_add_nc_u32_e32 v9, 0x43000000, v9
; %bb.13:                               ;   in Loop: Header=BB18_4 Depth=1
	s_and_not1_saveexec_b32 s16, s16
	s_delay_alu instid0(SALU_CYCLE_1)
	s_or_b32 exec_lo, exec_lo, s16
.LBB18_14:                              ;   in Loop: Header=BB18_4 Depth=1
	s_delay_alu instid0(SALU_CYCLE_1)
	s_or_b32 exec_lo, exec_lo, s15
.LBB18_15:                              ;   in Loop: Header=BB18_4 Depth=1
	s_delay_alu instid0(SALU_CYCLE_1)
	s_or_b32 exec_lo, exec_lo, s14
	s_branch .LBB18_17
.LBB18_16:                              ;   in Loop: Header=BB18_4 Depth=1
	v_lshlrev_b64 v[9:10], 2, v[2:3]
	s_delay_alu instid0(VALU_DEP_1) | instskip(NEXT) | instid1(VALU_DEP_2)
	v_add_co_u32 v9, vcc_lo, s2, v9
	v_add_co_ci_u32_e32 v10, vcc_lo, s3, v10, vcc_lo
	global_load_b32 v9, v[9:10], off
.LBB18_17:                              ;   in Loop: Header=BB18_4 Depth=1
	s_waitcnt vmcnt(0)
	v_mov_b32_e32 v2, v4
	s_cmp_ge_u32 s13, s12
	s_cbranch_scc1 .LBB18_3
; %bb.18:                               ;   in Loop: Header=BB18_4 Depth=1
	s_add_i32 s14, s11, s13
	s_delay_alu instid0(SALU_CYCLE_1) | instskip(SKIP_1) | instid1(SALU_CYCLE_1)
	s_cmp_ge_u32 s14, s12
	s_cselect_b32 s15, s12, 0
	s_sub_i32 s14, s14, s15
	s_delay_alu instid0(SALU_CYCLE_1) | instskip(SKIP_1) | instid1(SALU_CYCLE_1)
	s_mul_hi_u32 s15, s14, s0
	s_mul_i32 s14, s14, s0
	s_lshl_b64 s[14:15], s[14:15], 2
	s_delay_alu instid0(SALU_CYCLE_1)
	v_add_co_u32 v10, vcc_lo, v6, s14
	v_add_co_ci_u32_e32 v11, vcc_lo, s15, v7, vcc_lo
	global_load_b32 v2, v[10:11], off
	s_branch .LBB18_3
.LBB18_19:                              ;   in Loop: Header=BB18_4 Depth=1
                                        ; implicit-def: $vgpr9
	s_cbranch_execnz .LBB18_16
	s_branch .LBB18_17
.LBB18_20:
	s_branch .LBB18_22
.LBB18_21:
	v_mov_b32_e32 v5, 0
	s_mov_b32 s9, 0
	s_delay_alu instid0(SALU_CYCLE_1)
	s_mov_b64 s[0:1], s[8:9]
.LBB18_22:
	s_delay_alu instid0(VALU_DEP_1)
	v_mul_f32_e32 v2, 0xbfb8aa3b, v5
	v_cmp_nlt_f32_e32 vcc_lo, 0x42ce8ed0, v5
	s_mul_i32 s1, s1, s11
	s_mul_hi_u32 s2, s0, s11
	s_mul_i32 s0, s0, s11
	v_rndne_f32_e32 v3, v2
	v_fma_f32 v6, 0xbfb8aa3b, v5, -v2
	s_add_i32 s1, s2, s1
	s_delay_alu instid0(SALU_CYCLE_1) | instskip(NEXT) | instid1(VALU_DEP_2)
	s_lshl_b64 s[0:1], s[0:1], 2
	v_sub_f32_e32 v2, v2, v3
	s_delay_alu instid0(VALU_DEP_2) | instskip(SKIP_3) | instid1(VALU_DEP_2)
	v_fmamk_f32 v6, v5, 0xb2a5705f, v6
	v_cvt_i32_f32_e32 v3, v3
	s_add_u32 s0, s4, s0
	s_addc_u32 s1, s5, s1
	v_add_f32_e32 v2, v2, v6
	s_delay_alu instid0(VALU_DEP_1) | instskip(SKIP_2) | instid1(VALU_DEP_1)
	v_exp_f32_e32 v2, v2
	s_waitcnt_depctr 0xfff
	v_ldexp_f32 v2, v2, v3
	v_cndmask_b32_e32 v2, 0, v2, vcc_lo
	v_cmp_ngt_f32_e32 vcc_lo, 0xc2b17218, v5
	s_delay_alu instid0(VALU_DEP_2) | instskip(NEXT) | instid1(VALU_DEP_1)
	v_cndmask_b32_e32 v2, 0x7f800000, v2, vcc_lo
	v_add_f32_e32 v6, 1.0, v2
	s_delay_alu instid0(VALU_DEP_1) | instskip(SKIP_1) | instid1(VALU_DEP_2)
	v_div_scale_f32 v2, null, v6, v6, v5
	v_div_scale_f32 v8, vcc_lo, v5, v6, v5
	v_rcp_f32_e32 v3, v2
	s_waitcnt_depctr 0xfff
	v_fma_f32 v7, -v2, v3, 1.0
	s_delay_alu instid0(VALU_DEP_1) | instskip(NEXT) | instid1(VALU_DEP_1)
	v_fmac_f32_e32 v3, v7, v3
	v_mul_f32_e32 v7, v8, v3
	s_delay_alu instid0(VALU_DEP_1) | instskip(NEXT) | instid1(VALU_DEP_1)
	v_fma_f32 v9, -v2, v7, v8
	v_fmac_f32_e32 v7, v9, v3
	s_delay_alu instid0(VALU_DEP_1) | instskip(NEXT) | instid1(VALU_DEP_1)
	v_fma_f32 v2, -v2, v7, v8
	v_div_fmas_f32 v7, v2, v3, v7
	v_add_co_u32 v2, vcc_lo, s6, v0
	v_add_co_ci_u32_e32 v3, vcc_lo, s7, v1, vcc_lo
	v_add_co_u32 v0, vcc_lo, s0, v0
	s_delay_alu instid0(VALU_DEP_4)
	v_div_fixup_f32 v5, v7, v6, v5
	v_add_co_ci_u32_e32 v1, vcc_lo, s1, v1, vcc_lo
	global_store_b32 v[2:3], v5, off
	s_waitcnt vmcnt(0)
	global_store_b32 v[0:1], v4, off
.LBB18_23:
	s_nop 0
	s_sendmsg sendmsg(MSG_DEALLOC_VGPRS)
	s_endpgm
.LBB18_24:
                                        ; implicit-def: $vgpr5
                                        ; implicit-def: $sgpr0_sgpr1
	s_cbranch_execnz .LBB18_21
	s_branch .LBB18_22
	.section	.rodata,"a",@progbits
	.p2align	6, 0x0
	.amdhsa_kernel ssm_conv1d
		.amdhsa_group_segment_fixed_size 0
		.amdhsa_private_segment_fixed_size 0
		.amdhsa_kernarg_size 304
		.amdhsa_user_sgpr_count 15
		.amdhsa_user_sgpr_dispatch_ptr 0
		.amdhsa_user_sgpr_queue_ptr 0
		.amdhsa_user_sgpr_kernarg_segment_ptr 1
		.amdhsa_user_sgpr_dispatch_id 0
		.amdhsa_user_sgpr_private_segment_size 0
		.amdhsa_wavefront_size32 1
		.amdhsa_uses_dynamic_stack 0
		.amdhsa_enable_private_segment 0
		.amdhsa_system_sgpr_workgroup_id_x 1
		.amdhsa_system_sgpr_workgroup_id_y 0
		.amdhsa_system_sgpr_workgroup_id_z 0
		.amdhsa_system_sgpr_workgroup_info 0
		.amdhsa_system_vgpr_workitem_id 0
		.amdhsa_next_free_vgpr 14
		.amdhsa_next_free_sgpr 17
		.amdhsa_reserve_vcc 1
		.amdhsa_float_round_mode_32 0
		.amdhsa_float_round_mode_16_64 0
		.amdhsa_float_denorm_mode_32 3
		.amdhsa_float_denorm_mode_16_64 3
		.amdhsa_dx10_clamp 1
		.amdhsa_ieee_mode 1
		.amdhsa_fp16_overflow 0
		.amdhsa_workgroup_processor_mode 1
		.amdhsa_memory_ordered 1
		.amdhsa_forward_progress 0
		.amdhsa_shared_vgpr_count 0
		.amdhsa_exception_fp_ieee_invalid_op 0
		.amdhsa_exception_fp_denorm_src 0
		.amdhsa_exception_fp_ieee_div_zero 0
		.amdhsa_exception_fp_ieee_overflow 0
		.amdhsa_exception_fp_ieee_underflow 0
		.amdhsa_exception_fp_ieee_inexact 0
		.amdhsa_exception_int_div_zero 0
	.end_amdhsa_kernel
	.text
.Lfunc_end18:
	.size	ssm_conv1d, .Lfunc_end18-ssm_conv1d
                                        ; -- End function
	.section	.AMDGPU.csdata,"",@progbits
; Kernel info:
; codeLenInByte = 924
; NumSgprs: 19
; NumVgprs: 14
; ScratchSize: 0
; MemoryBound: 0
; FloatMode: 240
; IeeeMode: 1
; LDSByteSize: 0 bytes/workgroup (compile time only)
; SGPRBlocks: 2
; VGPRBlocks: 1
; NumSGPRsForWavesPerEU: 19
; NumVGPRsForWavesPerEU: 14
; Occupancy: 16
; WaveLimiterHint : 0
; COMPUTE_PGM_RSRC2:SCRATCH_EN: 0
; COMPUTE_PGM_RSRC2:USER_SGPR: 15
; COMPUTE_PGM_RSRC2:TRAP_HANDLER: 0
; COMPUTE_PGM_RSRC2:TGID_X_EN: 1
; COMPUTE_PGM_RSRC2:TGID_Y_EN: 0
; COMPUTE_PGM_RSRC2:TGID_Z_EN: 0
; COMPUTE_PGM_RSRC2:TIDIG_COMP_CNT: 0
	.text
	.protected	ssm_gated_norm          ; -- Begin function ssm_gated_norm
	.globl	ssm_gated_norm
	.p2align	8
	.type	ssm_gated_norm,@function
ssm_gated_norm:                         ; @ssm_gated_norm
; %bb.0:
	s_clause 0x1
	s_load_b128 s[16:19], s[0:1], 0x28
	s_load_b256 s[4:11], s[0:1], 0x0
	v_mov_b32_e32 v3, 0
	s_waitcnt lgkmcnt(0)
	v_cmp_gt_u32_e64 s2, s16, v0
	s_mul_i32 s3, s16, s15
	s_delay_alu instid0(VALU_DEP_1)
	s_and_saveexec_b32 s12, s2
	s_cbranch_execz .LBB19_4
; %bb.1:
	s_load_b32 s13, s[0:1], 0x44
	v_dual_mov_b32 v2, 0 :: v_dual_mov_b32 v3, 0
	v_mov_b32_e32 v4, v0
	s_waitcnt lgkmcnt(0)
	s_and_b32 s14, s13, 0xffff
	s_mov_b32 s13, 0
.LBB19_2:                               ; =>This Inner Loop Header: Depth=1
	s_delay_alu instid0(VALU_DEP_1) | instskip(NEXT) | instid1(VALU_DEP_1)
	v_add_nc_u32_e32 v1, s3, v4
	v_lshlrev_b64 v[5:6], 2, v[1:2]
	s_delay_alu instid0(VALU_DEP_1) | instskip(NEXT) | instid1(VALU_DEP_2)
	v_add_co_u32 v5, vcc_lo, s4, v5
	v_add_co_ci_u32_e32 v6, vcc_lo, s5, v6, vcc_lo
	global_load_b32 v1, v[5:6], off
	s_waitcnt vmcnt(0)
	v_dual_fmac_f32 v3, v1, v1 :: v_dual_add_nc_u32 v4, s14, v4
	s_delay_alu instid0(VALU_DEP_1) | instskip(SKIP_1) | instid1(SALU_CYCLE_1)
	v_cmp_le_u32_e32 vcc_lo, s16, v4
	s_or_b32 s13, vcc_lo, s13
	s_and_not1_b32 exec_lo, exec_lo, s13
	s_cbranch_execnz .LBB19_2
; %bb.3:
	s_or_b32 exec_lo, exec_lo, s13
.LBB19_4:
	s_delay_alu instid0(SALU_CYCLE_1) | instskip(SKIP_2) | instid1(VALU_DEP_1)
	s_or_b32 exec_lo, exec_lo, s12
	v_mbcnt_lo_u32_b32 v5, -1, 0
	s_mov_b32 s12, exec_lo
	v_cmp_gt_u32_e32 vcc_lo, 16, v5
	v_cndmask_b32_e64 v1, 0, 1, vcc_lo
	v_cmp_gt_u32_e32 vcc_lo, 24, v5
	s_delay_alu instid0(VALU_DEP_2) | instskip(SKIP_2) | instid1(VALU_DEP_3)
	v_lshlrev_b32_e32 v1, 4, v1
	v_cndmask_b32_e64 v2, 0, 1, vcc_lo
	v_cmp_gt_u32_e32 vcc_lo, 28, v5
	v_add_lshl_u32 v1, v1, v5, 2
	s_delay_alu instid0(VALU_DEP_3)
	v_lshlrev_b32_e32 v2, 3, v2
	ds_bpermute_b32 v4, v1, v3
	v_add_lshl_u32 v2, v2, v5, 2
	s_waitcnt lgkmcnt(0)
	v_add_f32_e32 v4, v3, v4
	v_cndmask_b32_e64 v3, 0, 1, vcc_lo
	v_cmp_gt_u32_e32 vcc_lo, 30, v5
	ds_bpermute_b32 v6, v2, v4
	s_waitcnt lgkmcnt(0)
	v_dual_add_f32 v6, v4, v6 :: v_dual_lshlrev_b32 v3, 2, v3
	s_delay_alu instid0(VALU_DEP_1) | instskip(SKIP_4) | instid1(VALU_DEP_1)
	v_add_lshl_u32 v3, v3, v5, 2
	v_cndmask_b32_e64 v4, 0, 1, vcc_lo
	v_cmp_ne_u32_e32 vcc_lo, 31, v5
	ds_bpermute_b32 v7, v3, v6
	v_lshlrev_b32_e32 v4, 1, v4
	v_add_lshl_u32 v4, v4, v5, 2
	v_add_co_ci_u32_e32 v5, vcc_lo, 0, v5, vcc_lo
	s_waitcnt lgkmcnt(0)
	s_delay_alu instid0(VALU_DEP_1)
	v_dual_add_f32 v6, v6, v7 :: v_dual_lshlrev_b32 v5, 2, v5
	ds_bpermute_b32 v7, v4, v6
	s_waitcnt lgkmcnt(0)
	v_dual_add_f32 v6, v6, v7 :: v_dual_and_b32 v7, 31, v0
	ds_bpermute_b32 v8, v5, v6
	v_cmpx_eq_u32_e32 0, v7
	s_cbranch_execz .LBB19_6
; %bb.5:
	s_waitcnt lgkmcnt(0)
	v_add_f32_e32 v6, v6, v8
	v_lshrrev_b32_e32 v8, 3, v0
	ds_store_b32 v8, v6
.LBB19_6:
	s_or_b32 exec_lo, exec_lo, s12
	s_waitcnt lgkmcnt(0)
	s_barrier
	buffer_gl0_inv
	s_load_b32 s0, s[0:1], 0x44
	v_mov_b32_e32 v6, 0
	s_waitcnt lgkmcnt(0)
	s_and_b32 s1, s0, 0xffff
	s_delay_alu instid0(SALU_CYCLE_1) | instskip(NEXT) | instid1(SALU_CYCLE_1)
	s_add_i32 s0, s1, 31
	s_lshr_b32 s0, s0, 5
	s_delay_alu instid0(SALU_CYCLE_1)
	v_cmp_gt_u32_e32 vcc_lo, s0, v0
	s_and_saveexec_b32 s0, vcc_lo
	s_cbranch_execz .LBB19_8
; %bb.7:
	v_lshlrev_b32_e32 v6, 2, v7
	ds_load_b32 v6, v6
.LBB19_8:
	s_or_b32 exec_lo, exec_lo, s0
	s_delay_alu instid0(SALU_CYCLE_1)
	s_mov_b32 s0, exec_lo
	v_cmpx_gt_u32_e32 32, v0
	s_cbranch_execz .LBB19_10
; %bb.9:
	s_waitcnt lgkmcnt(0)
	ds_bpermute_b32 v1, v1, v6
	s_waitcnt lgkmcnt(0)
	v_add_f32_e32 v1, v6, v1
	ds_bpermute_b32 v2, v2, v1
	s_waitcnt lgkmcnt(0)
	v_add_f32_e32 v1, v1, v2
	;; [unrolled: 3-line block ×5, first 2 shown]
.LBB19_10:
	s_or_b32 exec_lo, exec_lo, s0
	s_delay_alu instid0(SALU_CYCLE_1)
	s_mov_b32 s0, exec_lo
	v_cmpx_eq_u32_e32 0, v0
	s_cbranch_execz .LBB19_12
; %bb.11:
	v_cvt_f32_u32_e32 v1, s16
	s_waitcnt lgkmcnt(0)
	s_delay_alu instid0(VALU_DEP_1) | instskip(SKIP_1) | instid1(VALU_DEP_2)
	v_div_scale_f32 v2, null, v1, v1, v6
	v_div_scale_f32 v5, vcc_lo, v6, v1, v6
	v_rcp_f32_e32 v3, v2
	s_waitcnt_depctr 0xfff
	v_fma_f32 v4, -v2, v3, 1.0
	s_delay_alu instid0(VALU_DEP_1) | instskip(NEXT) | instid1(VALU_DEP_1)
	v_fmac_f32_e32 v3, v4, v3
	v_mul_f32_e32 v4, v5, v3
	s_delay_alu instid0(VALU_DEP_1) | instskip(NEXT) | instid1(VALU_DEP_1)
	v_fma_f32 v7, -v2, v4, v5
	v_fmac_f32_e32 v4, v7, v3
	s_delay_alu instid0(VALU_DEP_1) | instskip(NEXT) | instid1(VALU_DEP_1)
	v_fma_f32 v2, -v2, v4, v5
	v_div_fmas_f32 v2, v2, v3, v4
	s_delay_alu instid0(VALU_DEP_1) | instskip(NEXT) | instid1(VALU_DEP_1)
	v_div_fixup_f32 v1, v2, v1, v6
	v_add_f32_e32 v1, 0x358637bd, v1
	s_delay_alu instid0(VALU_DEP_1) | instskip(SKIP_1) | instid1(VALU_DEP_2)
	v_mul_f32_e32 v2, 0x4b800000, v1
	v_cmp_gt_f32_e32 vcc_lo, 0x800000, v1
	v_cndmask_b32_e32 v1, v1, v2, vcc_lo
	s_delay_alu instid0(VALU_DEP_1) | instskip(SKIP_2) | instid1(VALU_DEP_1)
	v_rsq_f32_e32 v1, v1
	s_waitcnt_depctr 0xfff
	v_mul_f32_e32 v2, 0x45800000, v1
	v_dual_cndmask_b32 v1, v1, v2 :: v_dual_mov_b32 v2, 0
	ds_store_b32 v2, v1 offset:128
.LBB19_12:
	s_or_b32 exec_lo, exec_lo, s0
	s_waitcnt lgkmcnt(0)
	s_barrier
	buffer_gl0_inv
	s_and_saveexec_b32 s0, s2
	s_cbranch_execz .LBB19_17
; %bb.13:
	v_cvt_f32_u32_e32 v1, s17
	s_cmp_eq_u32 s18, 0
	s_mov_b32 s12, 0
	s_cselect_b32 s2, -1, 0
	s_sub_i32 s0, 0, s17
	v_rcp_iflag_f32_e32 v1, v1
	v_mov_b32_e32 v2, 0
	ds_load_b32 v5, v2 offset:128
	v_mul_f32_e32 v1, 0x4f7ffffe, v1
	s_delay_alu instid0(VALU_DEP_1) | instskip(NEXT) | instid1(VALU_DEP_1)
	v_cvt_u32_f32_e32 v1, v1
	v_mul_lo_u32 v3, s0, v1
	s_delay_alu instid0(VALU_DEP_1) | instskip(NEXT) | instid1(VALU_DEP_1)
	v_mul_hi_u32 v3, v1, v3
	v_add_nc_u32_e32 v6, v1, v3
	s_branch .LBB19_15
.LBB19_14:                              ;   in Loop: Header=BB19_15 Depth=1
	v_add_co_u32 v8, vcc_lo, s6, v3
	v_add_co_ci_u32_e32 v9, vcc_lo, s7, v4, vcc_lo
	v_add_nc_u32_e32 v0, s1, v0
	v_add_co_u32 v3, s0, s10, v3
	global_load_b32 v10, v[8:9], off
	v_lshlrev_b64 v[8:9], 2, v[1:2]
	v_add_co_ci_u32_e64 v4, s0, s11, v4, s0
	s_waitcnt vmcnt(1) lgkmcnt(0)
	v_mul_f32_e32 v7, v5, v7
	s_delay_alu instid0(VALU_DEP_3) | instskip(NEXT) | instid1(VALU_DEP_4)
	v_add_co_u32 v8, vcc_lo, s8, v8
	v_add_co_ci_u32_e32 v9, vcc_lo, s9, v9, vcc_lo
	global_load_b32 v1, v[8:9], off
	s_waitcnt vmcnt(1)
	v_mul_f32_e32 v8, 0xbfb8aa3b, v10
	v_cmp_nlt_f32_e32 vcc_lo, 0x42ce8ed0, v10
	s_delay_alu instid0(VALU_DEP_2) | instskip(SKIP_1) | instid1(VALU_DEP_1)
	v_fma_f32 v9, 0xbfb8aa3b, v10, -v8
	v_rndne_f32_e32 v11, v8
	v_dual_fmac_f32 v9, 0xb2a5705f, v10 :: v_dual_sub_f32 v8, v8, v11
	s_waitcnt vmcnt(0)
	v_mul_f32_e32 v1, v7, v1
	s_delay_alu instid0(VALU_DEP_2) | instskip(SKIP_1) | instid1(VALU_DEP_2)
	v_add_f32_e32 v8, v8, v9
	v_cvt_i32_f32_e32 v9, v11
	v_exp_f32_e32 v8, v8
	s_waitcnt_depctr 0xfff
	v_ldexp_f32 v8, v8, v9
	s_delay_alu instid0(VALU_DEP_1) | instskip(SKIP_1) | instid1(VALU_DEP_2)
	v_cndmask_b32_e32 v8, 0, v8, vcc_lo
	v_cmp_ngt_f32_e32 vcc_lo, 0xc2b17218, v10
	v_cndmask_b32_e32 v8, 0x7f800000, v8, vcc_lo
	s_delay_alu instid0(VALU_DEP_1) | instskip(NEXT) | instid1(VALU_DEP_1)
	v_add_f32_e32 v8, 1.0, v8
	v_div_scale_f32 v9, null, v8, v8, v10
	v_div_scale_f32 v13, vcc_lo, v10, v8, v10
	s_delay_alu instid0(VALU_DEP_2) | instskip(SKIP_2) | instid1(VALU_DEP_1)
	v_rcp_f32_e32 v11, v9
	s_waitcnt_depctr 0xfff
	v_fma_f32 v12, -v9, v11, 1.0
	v_fmac_f32_e32 v11, v12, v11
	s_delay_alu instid0(VALU_DEP_1) | instskip(NEXT) | instid1(VALU_DEP_1)
	v_mul_f32_e32 v12, v13, v11
	v_fma_f32 v14, -v9, v12, v13
	s_delay_alu instid0(VALU_DEP_1) | instskip(NEXT) | instid1(VALU_DEP_1)
	v_fmac_f32_e32 v12, v14, v11
	v_fma_f32 v9, -v9, v12, v13
	s_delay_alu instid0(VALU_DEP_1) | instskip(SKIP_1) | instid1(VALU_DEP_2)
	v_div_fmas_f32 v9, v9, v11, v12
	v_cmp_le_u32_e32 vcc_lo, s16, v0
	v_div_fixup_f32 v7, v9, v8, v10
	s_or_b32 s12, vcc_lo, s12
	s_delay_alu instid0(VALU_DEP_1)
	v_mul_f32_e32 v1, v1, v7
	global_store_b32 v[3:4], v1, off
	s_and_not1_b32 exec_lo, exec_lo, s12
	s_cbranch_execz .LBB19_17
.LBB19_15:                              ; =>This Inner Loop Header: Depth=1
	v_add_nc_u32_e32 v1, s3, v0
	s_delay_alu instid0(VALU_DEP_1) | instskip(NEXT) | instid1(VALU_DEP_1)
	v_lshlrev_b64 v[3:4], 2, v[1:2]
	v_add_co_u32 v7, vcc_lo, s4, v3
	s_delay_alu instid0(VALU_DEP_2)
	v_add_co_ci_u32_e32 v8, vcc_lo, s5, v4, vcc_lo
	s_and_not1_b32 vcc_lo, exec_lo, s2
	global_load_b32 v7, v[7:8], off
	s_cbranch_vccnz .LBB19_14
; %bb.16:                               ;   in Loop: Header=BB19_15 Depth=1
	v_mul_hi_u32 v1, v6, v0
	s_delay_alu instid0(VALU_DEP_1) | instskip(SKIP_1) | instid1(VALU_DEP_1)
	v_mul_lo_u32 v10, s17, v1
	v_not_b32_e32 v1, v1
	v_mad_u64_u32 v[8:9], null, s17, v1, v[0:1]
	s_delay_alu instid0(VALU_DEP_3) | instskip(NEXT) | instid1(VALU_DEP_1)
	v_sub_nc_u32_e32 v1, v0, v10
	v_cmp_le_u32_e32 vcc_lo, s17, v1
	s_delay_alu instid0(VALU_DEP_3) | instskip(NEXT) | instid1(VALU_DEP_1)
	v_cndmask_b32_e32 v1, v1, v8, vcc_lo
	v_subrev_nc_u32_e32 v8, s17, v1
	v_cmp_le_u32_e32 vcc_lo, s17, v1
	s_delay_alu instid0(VALU_DEP_2)
	v_cndmask_b32_e32 v1, v1, v8, vcc_lo
	s_branch .LBB19_14
.LBB19_17:
	s_nop 0
	s_sendmsg sendmsg(MSG_DEALLOC_VGPRS)
	s_endpgm
	.section	.rodata,"a",@progbits
	.p2align	6, 0x0
	.amdhsa_kernel ssm_gated_norm
		.amdhsa_group_segment_fixed_size 132
		.amdhsa_private_segment_fixed_size 0
		.amdhsa_kernarg_size 312
		.amdhsa_user_sgpr_count 15
		.amdhsa_user_sgpr_dispatch_ptr 0
		.amdhsa_user_sgpr_queue_ptr 0
		.amdhsa_user_sgpr_kernarg_segment_ptr 1
		.amdhsa_user_sgpr_dispatch_id 0
		.amdhsa_user_sgpr_private_segment_size 0
		.amdhsa_wavefront_size32 1
		.amdhsa_uses_dynamic_stack 0
		.amdhsa_enable_private_segment 0
		.amdhsa_system_sgpr_workgroup_id_x 1
		.amdhsa_system_sgpr_workgroup_id_y 0
		.amdhsa_system_sgpr_workgroup_id_z 0
		.amdhsa_system_sgpr_workgroup_info 0
		.amdhsa_system_vgpr_workitem_id 0
		.amdhsa_next_free_vgpr 15
		.amdhsa_next_free_sgpr 20
		.amdhsa_reserve_vcc 1
		.amdhsa_float_round_mode_32 0
		.amdhsa_float_round_mode_16_64 0
		.amdhsa_float_denorm_mode_32 3
		.amdhsa_float_denorm_mode_16_64 3
		.amdhsa_dx10_clamp 1
		.amdhsa_ieee_mode 1
		.amdhsa_fp16_overflow 0
		.amdhsa_workgroup_processor_mode 1
		.amdhsa_memory_ordered 1
		.amdhsa_forward_progress 0
		.amdhsa_shared_vgpr_count 0
		.amdhsa_exception_fp_ieee_invalid_op 0
		.amdhsa_exception_fp_denorm_src 0
		.amdhsa_exception_fp_ieee_div_zero 0
		.amdhsa_exception_fp_ieee_overflow 0
		.amdhsa_exception_fp_ieee_underflow 0
		.amdhsa_exception_fp_ieee_inexact 0
		.amdhsa_exception_int_div_zero 0
	.end_amdhsa_kernel
	.text
.Lfunc_end19:
	.size	ssm_gated_norm, .Lfunc_end19-ssm_gated_norm
                                        ; -- End function
	.section	.AMDGPU.csdata,"",@progbits
; Kernel info:
; codeLenInByte = 1356
; NumSgprs: 22
; NumVgprs: 15
; ScratchSize: 0
; MemoryBound: 0
; FloatMode: 240
; IeeeMode: 1
; LDSByteSize: 132 bytes/workgroup (compile time only)
; SGPRBlocks: 2
; VGPRBlocks: 1
; NumSGPRsForWavesPerEU: 22
; NumVGPRsForWavesPerEU: 15
; Occupancy: 16
; WaveLimiterHint : 0
; COMPUTE_PGM_RSRC2:SCRATCH_EN: 0
; COMPUTE_PGM_RSRC2:USER_SGPR: 15
; COMPUTE_PGM_RSRC2:TRAP_HANDLER: 0
; COMPUTE_PGM_RSRC2:TGID_X_EN: 1
; COMPUTE_PGM_RSRC2:TGID_Y_EN: 0
; COMPUTE_PGM_RSRC2:TGID_Z_EN: 0
; COMPUTE_PGM_RSRC2:TIDIG_COMP_CNT: 0
	.text
	.protected	kv_cache_write          ; -- Begin function kv_cache_write
	.globl	kv_cache_write
	.p2align	8
	.type	kv_cache_write,@function
kv_cache_write:                         ; @kv_cache_write
; %bb.0:
	s_clause 0x1
	s_load_b32 s2, s[0:1], 0x34
	s_load_b32 s3, s[0:1], 0x20
	s_waitcnt lgkmcnt(0)
	s_and_b32 s2, s2, 0xffff
	s_delay_alu instid0(SALU_CYCLE_1) | instskip(SKIP_1) | instid1(VALU_DEP_1)
	v_mad_u64_u32 v[1:2], null, s15, s2, v[0:1]
	s_mov_b32 s2, exec_lo
	v_cmpx_gt_u32_e64 s3, v1
	s_cbranch_execz .LBB20_2
; %bb.1:
	s_clause 0x1
	s_load_b256 s[4:11], s[0:1], 0x0
	s_load_b32 s0, s[0:1], 0x24
	v_mov_b32_e32 v3, 0
	s_delay_alu instid0(VALU_DEP_1) | instskip(NEXT) | instid1(VALU_DEP_1)
	v_mov_b32_e32 v2, v3
	v_lshlrev_b64 v[4:5], 2, v[1:2]
	s_waitcnt lgkmcnt(0)
	s_delay_alu instid0(VALU_DEP_1) | instskip(SKIP_1) | instid1(VALU_DEP_3)
	v_add_co_u32 v6, vcc_lo, s4, v4
	v_add_nc_u32_e32 v2, s0, v1
	v_add_co_ci_u32_e32 v7, vcc_lo, s5, v5, vcc_lo
	s_delay_alu instid0(VALU_DEP_2)
	v_lshlrev_b64 v[0:1], 2, v[2:3]
	global_load_b32 v6, v[6:7], off
	v_add_co_u32 v2, vcc_lo, s6, v0
	v_add_co_ci_u32_e32 v3, vcc_lo, s7, v1, vcc_lo
	v_add_co_u32 v4, vcc_lo, s8, v4
	v_add_co_ci_u32_e32 v5, vcc_lo, s9, v5, vcc_lo
	;; [unrolled: 2-line block ×3, first 2 shown]
	s_waitcnt vmcnt(0)
	global_store_b32 v[2:3], v6, off
	global_load_b32 v2, v[4:5], off
	s_waitcnt vmcnt(0)
	global_store_b32 v[0:1], v2, off
.LBB20_2:
	s_nop 0
	s_sendmsg sendmsg(MSG_DEALLOC_VGPRS)
	s_endpgm
	.section	.rodata,"a",@progbits
	.p2align	6, 0x0
	.amdhsa_kernel kv_cache_write
		.amdhsa_group_segment_fixed_size 0
		.amdhsa_private_segment_fixed_size 0
		.amdhsa_kernarg_size 296
		.amdhsa_user_sgpr_count 15
		.amdhsa_user_sgpr_dispatch_ptr 0
		.amdhsa_user_sgpr_queue_ptr 0
		.amdhsa_user_sgpr_kernarg_segment_ptr 1
		.amdhsa_user_sgpr_dispatch_id 0
		.amdhsa_user_sgpr_private_segment_size 0
		.amdhsa_wavefront_size32 1
		.amdhsa_uses_dynamic_stack 0
		.amdhsa_enable_private_segment 0
		.amdhsa_system_sgpr_workgroup_id_x 1
		.amdhsa_system_sgpr_workgroup_id_y 0
		.amdhsa_system_sgpr_workgroup_id_z 0
		.amdhsa_system_sgpr_workgroup_info 0
		.amdhsa_system_vgpr_workitem_id 0
		.amdhsa_next_free_vgpr 8
		.amdhsa_next_free_sgpr 16
		.amdhsa_reserve_vcc 1
		.amdhsa_float_round_mode_32 0
		.amdhsa_float_round_mode_16_64 0
		.amdhsa_float_denorm_mode_32 3
		.amdhsa_float_denorm_mode_16_64 3
		.amdhsa_dx10_clamp 1
		.amdhsa_ieee_mode 1
		.amdhsa_fp16_overflow 0
		.amdhsa_workgroup_processor_mode 1
		.amdhsa_memory_ordered 1
		.amdhsa_forward_progress 0
		.amdhsa_shared_vgpr_count 0
		.amdhsa_exception_fp_ieee_invalid_op 0
		.amdhsa_exception_fp_denorm_src 0
		.amdhsa_exception_fp_ieee_div_zero 0
		.amdhsa_exception_fp_ieee_overflow 0
		.amdhsa_exception_fp_ieee_underflow 0
		.amdhsa_exception_fp_ieee_inexact 0
		.amdhsa_exception_int_div_zero 0
	.end_amdhsa_kernel
	.text
.Lfunc_end20:
	.size	kv_cache_write, .Lfunc_end20-kv_cache_write
                                        ; -- End function
	.section	.AMDGPU.csdata,"",@progbits
; Kernel info:
; codeLenInByte = 224
; NumSgprs: 18
; NumVgprs: 8
; ScratchSize: 0
; MemoryBound: 0
; FloatMode: 240
; IeeeMode: 1
; LDSByteSize: 0 bytes/workgroup (compile time only)
; SGPRBlocks: 2
; VGPRBlocks: 0
; NumSGPRsForWavesPerEU: 18
; NumVGPRsForWavesPerEU: 8
; Occupancy: 16
; WaveLimiterHint : 0
; COMPUTE_PGM_RSRC2:SCRATCH_EN: 0
; COMPUTE_PGM_RSRC2:USER_SGPR: 15
; COMPUTE_PGM_RSRC2:TRAP_HANDLER: 0
; COMPUTE_PGM_RSRC2:TGID_X_EN: 1
; COMPUTE_PGM_RSRC2:TGID_Y_EN: 0
; COMPUTE_PGM_RSRC2:TGID_Z_EN: 0
; COMPUTE_PGM_RSRC2:TIDIG_COMP_CNT: 0
	.text
	.protected	naive_attention         ; -- Begin function naive_attention
	.globl	naive_attention
	.p2align	8
	.type	naive_attention,@function
naive_attention:                        ; @naive_attention
; %bb.0:
	s_clause 0x1
	s_load_b128 s[16:19], s[0:1], 0x28
	s_load_b64 s[24:25], s[0:1], 0x38
	s_waitcnt lgkmcnt(0)
	v_cvt_f32_u32_e32 v1, s18
	s_sub_i32 s3, 0, s18
	s_delay_alu instid0(VALU_DEP_1) | instskip(SKIP_2) | instid1(VALU_DEP_1)
	v_rcp_iflag_f32_e32 v1, v1
	s_waitcnt_depctr 0xfff
	v_mul_f32_e32 v1, 0x4f7ffffe, v1
	v_cvt_u32_f32_e32 v1, v1
	s_delay_alu instid0(VALU_DEP_1) | instskip(NEXT) | instid1(VALU_DEP_1)
	v_readfirstlane_b32 s2, v1
	s_mul_i32 s3, s3, s2
	s_delay_alu instid0(SALU_CYCLE_1) | instskip(NEXT) | instid1(SALU_CYCLE_1)
	s_mul_hi_u32 s3, s2, s3
	s_add_i32 s2, s2, s3
	s_delay_alu instid0(SALU_CYCLE_1) | instskip(NEXT) | instid1(SALU_CYCLE_1)
	s_mul_hi_u32 s2, s17, s2
	s_mul_i32 s3, s2, s18
	s_add_i32 s4, s2, 1
	s_sub_i32 s3, s17, s3
	s_delay_alu instid0(SALU_CYCLE_1)
	s_sub_i32 s5, s3, s18
	s_cmp_ge_u32 s3, s18
	s_cselect_b32 s2, s4, s2
	s_cselect_b32 s3, s5, s3
	s_add_i32 s4, s2, 1
	s_cmp_ge_u32 s3, s18
	s_cselect_b32 s2, s4, s2
	s_delay_alu instid0(SALU_CYCLE_1) | instskip(SKIP_1) | instid1(VALU_DEP_1)
	v_cvt_f32_u32_e32 v1, s2
	s_sub_i32 s4, 0, s2
	v_rcp_iflag_f32_e32 v1, v1
	s_waitcnt_depctr 0xfff
	v_mul_f32_e32 v1, 0x4f7ffffe, v1
	s_delay_alu instid0(VALU_DEP_1) | instskip(NEXT) | instid1(VALU_DEP_1)
	v_cvt_u32_f32_e32 v1, v1
	v_readfirstlane_b32 s3, v1
	s_delay_alu instid0(VALU_DEP_1) | instskip(NEXT) | instid1(SALU_CYCLE_1)
	s_mul_i32 s4, s4, s3
	s_mul_hi_u32 s5, s3, s4
	s_mov_b32 s4, 0
	s_add_i32 s3, s3, s5
	s_cmp_eq_u32 s24, 0
	s_mul_hi_u32 s3, s15, s3
	s_cbranch_scc1 .LBB21_45
; %bb.1:
	v_mov_b32_e32 v3, s24
	s_and_not1_b32 vcc_lo, exec_lo, s4
	s_cbranch_vccnz .LBB21_3
.LBB21_2:
	v_cvt_f32_u32_e32 v1, s16
	s_cmp_eq_u32 s16, 0
	s_cselect_b32 vcc_lo, -1, 0
	s_delay_alu instid0(VALU_DEP_1) | instskip(SKIP_2) | instid1(VALU_DEP_1)
	v_rsq_f32_e32 v1, v1
	s_waitcnt_depctr 0xfff
	v_mul_f32_e32 v2, 0x45800000, v1
	v_cndmask_b32_e32 v3, v1, v2, vcc_lo
.LBB21_3:
	s_clause 0x1
	s_load_b256 s[4:11], s[0:1], 0x0
	s_load_b64 s[20:21], s[0:1], 0x20
	s_mul_i32 s12, s3, s2
	s_add_i32 s13, s3, 1
	s_sub_i32 s12, s15, s12
	v_mov_b32_e32 v4, 0xff7fc99e
	s_sub_i32 s14, s12, s2
	s_cmp_ge_u32 s12, s2
	s_mov_b32 s17, 0
	s_cselect_b32 s3, s13, s3
	s_cselect_b32 s12, s14, s12
	s_add_i32 s13, s3, 1
	s_cmp_ge_u32 s12, s2
	v_cmp_gt_u32_e64 s2, s19, v0
	s_cselect_b32 s12, s13, s3
	s_mul_hi_u32 s23, s16, s15
	s_mul_i32 s22, s16, s15
	s_delay_alu instid0(VALU_DEP_1)
	s_and_saveexec_b32 s3, s2
	s_cbranch_execz .LBB21_11
; %bb.4:
	s_load_b32 s24, s[0:1], 0x4c
	s_lshl_b64 s[26:27], s[22:23], 2
	v_dual_mov_b32 v4, 0xff7fc99e :: v_dual_mov_b32 v5, v0
	s_waitcnt lgkmcnt(0)
	s_add_u32 s4, s4, s26
	s_addc_u32 s5, s5, s27
	s_cmp_lg_u32 s16, 0
	s_mov_b32 s13, s17
	s_cselect_b32 s14, -1, 0
	s_lshl_b64 s[26:27], s[16:17], 2
	s_and_b32 s30, s24, 0xffff
	s_mov_b32 s24, s17
	s_set_inst_prefetch_distance 0x1
	s_branch .LBB21_7
	.p2align	6
.LBB21_5:                               ;   in Loop: Header=BB21_7 Depth=1
	v_mov_b32_e32 v6, 0
.LBB21_6:                               ;   in Loop: Header=BB21_7 Depth=1
	v_lshl_add_u32 v1, v5, 2, 0x10c
	s_delay_alu instid0(VALU_DEP_2) | instskip(SKIP_1) | instid1(VALU_DEP_2)
	v_dual_mul_f32 v2, v3, v6 :: v_dual_add_nc_u32 v5, s30, v5
	v_max_f32_e32 v4, v4, v4
	v_cmp_le_u32_e32 vcc_lo, s19, v5
	ds_store_b32 v1, v2
	v_max_f32_e32 v4, v4, v2
	s_or_b32 s24, vcc_lo, s24
	s_delay_alu instid0(SALU_CYCLE_1)
	s_and_not1_b32 exec_lo, exec_lo, s24
	s_cbranch_execz .LBB21_10
.LBB21_7:                               ; =>This Loop Header: Depth=1
                                        ;     Child Loop BB21_9 Depth 2
	s_and_not1_b32 vcc_lo, exec_lo, s14
	s_cbranch_vccnz .LBB21_5
; %bb.8:                                ;   in Loop: Header=BB21_7 Depth=1
	v_mad_u64_u32 v[6:7], null, s18, v5, s[12:13]
	s_mov_b64 s[28:29], s[4:5]
	s_mov_b32 s31, s16
	s_delay_alu instid0(VALU_DEP_1) | instskip(NEXT) | instid1(VALU_DEP_2)
	v_mul_lo_u32 v7, s26, v7
	v_mul_lo_u32 v8, s27, v6
	v_mad_u64_u32 v[1:2], null, s26, v6, s[6:7]
	v_mov_b32_e32 v6, 0
	s_delay_alu instid0(VALU_DEP_2)
	v_add3_u32 v2, v8, v2, v7
.LBB21_9:                               ;   Parent Loop BB21_7 Depth=1
                                        ; =>  This Inner Loop Header: Depth=2
	global_load_b32 v7, v[1:2], off
	s_load_b32 s33, s[28:29], 0x0
	v_add_co_u32 v1, vcc_lo, v1, 4
	s_add_i32 s31, s31, -1
	v_add_co_ci_u32_e32 v2, vcc_lo, 0, v2, vcc_lo
	s_add_u32 s28, s28, 4
	s_addc_u32 s29, s29, 0
	s_cmp_eq_u32 s31, 0
	s_waitcnt vmcnt(0) lgkmcnt(0)
	v_fmac_f32_e32 v6, s33, v7
	s_cbranch_scc0 .LBB21_9
	s_branch .LBB21_6
.LBB21_10:
	s_set_inst_prefetch_distance 0x2
	s_or_b32 exec_lo, exec_lo, s24
.LBB21_11:
	s_delay_alu instid0(SALU_CYCLE_1) | instskip(SKIP_1) | instid1(VALU_DEP_1)
	s_or_b32 exec_lo, exec_lo, s3
	v_mbcnt_lo_u32_b32 v5, -1, 0
	v_cmp_gt_u32_e32 vcc_lo, 16, v5
	v_cndmask_b32_e64 v1, 0, 1, vcc_lo
	v_cmp_gt_u32_e32 vcc_lo, 24, v5
	s_delay_alu instid0(VALU_DEP_2) | instskip(SKIP_2) | instid1(VALU_DEP_3)
	v_lshlrev_b32_e32 v1, 4, v1
	v_cndmask_b32_e64 v3, 0, 1, vcc_lo
	v_cmp_gt_u32_e32 vcc_lo, 28, v5
	v_add_lshl_u32 v1, v1, v5, 2
	ds_bpermute_b32 v2, v1, v4
	v_dual_max_f32 v4, v4, v4 :: v_dual_lshlrev_b32 v3, 3, v3
	s_waitcnt lgkmcnt(0)
	v_max_f32_e32 v6, v2, v2
	s_delay_alu instid0(VALU_DEP_2) | instskip(NEXT) | instid1(VALU_DEP_2)
	v_add_lshl_u32 v2, v3, v5, 2
	v_max_f32_e32 v4, v4, v6
	v_cndmask_b32_e64 v6, 0, 1, vcc_lo
	v_cmp_gt_u32_e32 vcc_lo, 30, v5
	ds_bpermute_b32 v3, v2, v4
	s_waitcnt lgkmcnt(0)
	v_dual_max_f32 v7, v3, v3 :: v_dual_lshlrev_b32 v6, 2, v6
	s_delay_alu instid0(VALU_DEP_1) | instskip(NEXT) | instid1(VALU_DEP_2)
	v_add_lshl_u32 v3, v6, v5, 2
	v_max_f32_e32 v6, v4, v7
	v_cndmask_b32_e64 v7, 0, 1, vcc_lo
	v_cmp_ne_u32_e32 vcc_lo, 31, v5
	ds_bpermute_b32 v4, v3, v6
	s_waitcnt lgkmcnt(0)
	v_dual_max_f32 v8, v4, v4 :: v_dual_lshlrev_b32 v7, 1, v7
	s_delay_alu instid0(VALU_DEP_1) | instskip(SKIP_1) | instid1(VALU_DEP_1)
	v_add_lshl_u32 v4, v7, v5, 2
	v_add_co_ci_u32_e32 v5, vcc_lo, 0, v5, vcc_lo
	v_dual_max_f32 v6, v6, v8 :: v_dual_lshlrev_b32 v5, 2, v5
	ds_bpermute_b32 v7, v4, v6
	s_waitcnt lgkmcnt(0)
	v_max_f32_e32 v7, v7, v7
	s_delay_alu instid0(VALU_DEP_1)
	v_dual_max_f32 v7, v6, v7 :: v_dual_and_b32 v6, 31, v0
	ds_bpermute_b32 v8, v5, v7
	v_cmp_eq_u32_e32 vcc_lo, 0, v6
	s_and_saveexec_b32 s3, vcc_lo
	s_cbranch_execz .LBB21_13
; %bb.12:
	s_waitcnt lgkmcnt(0)
	v_dual_max_f32 v8, v8, v8 :: v_dual_max_f32 v7, v7, v7
	s_delay_alu instid0(VALU_DEP_1)
	v_max_f32_e32 v7, v7, v8
	v_lshrrev_b32_e32 v8, 3, v0
	ds_store_b32 v8, v7
.LBB21_13:
	s_or_b32 exec_lo, exec_lo, s3
	s_waitcnt lgkmcnt(0)
	s_barrier
	buffer_gl0_inv
	s_load_b32 s0, s[0:1], 0x4c
	v_mov_b32_e32 v7, 0xff7fc99e
	s_waitcnt lgkmcnt(0)
	s_and_b32 s13, s0, 0xffff
	s_delay_alu instid0(SALU_CYCLE_1) | instskip(NEXT) | instid1(SALU_CYCLE_1)
	s_add_i32 s0, s13, 31
	s_lshr_b32 s0, s0, 5
	s_delay_alu instid0(SALU_CYCLE_1) | instskip(NEXT) | instid1(VALU_DEP_1)
	v_cmp_gt_u32_e64 s0, s0, v0
	s_and_saveexec_b32 s1, s0
	s_cbranch_execnz .LBB21_26
; %bb.14:
	s_or_b32 exec_lo, exec_lo, s1
	v_cmp_gt_u32_e64 s1, 32, v0
	s_delay_alu instid0(VALU_DEP_1)
	s_and_saveexec_b32 s3, s1
	s_cbranch_execnz .LBB21_27
.LBB21_15:
	s_or_b32 exec_lo, exec_lo, s3
	v_cmp_eq_u32_e64 s3, 0, v0
	s_delay_alu instid0(VALU_DEP_1)
	s_and_saveexec_b32 s4, s3
	s_cbranch_execz .LBB21_17
.LBB21_16:
	v_mov_b32_e32 v8, 0
	s_waitcnt lgkmcnt(0)
	ds_store_b32 v8, v7 offset:256
.LBB21_17:
	s_or_b32 exec_lo, exec_lo, s4
	v_mov_b32_e32 v8, 0
	s_waitcnt lgkmcnt(0)
	s_barrier
	buffer_gl0_inv
	ds_load_b32 v7, v8 offset:256
	s_and_saveexec_b32 s4, s2
	s_cbranch_execz .LBB21_21
; %bb.18:
	v_lshl_add_u32 v9, v0, 2, 0x10c
	v_mov_b32_e32 v8, 0
	v_mov_b32_e32 v10, v0
	s_lshl_b32 s6, s13, 2
	s_mov_b32 s5, 0
	s_set_inst_prefetch_distance 0x1
	.p2align	6
.LBB21_19:                              ; =>This Inner Loop Header: Depth=1
	ds_load_b32 v11, v9
	s_waitcnt lgkmcnt(0)
	v_dual_sub_f32 v11, v11, v7 :: v_dual_add_nc_u32 v10, s13, v10
	s_delay_alu instid0(VALU_DEP_1) | instskip(NEXT) | instid1(VALU_DEP_1)
	v_mul_f32_e32 v12, 0x3fb8aa3b, v11
	v_fma_f32 v13, 0x3fb8aa3b, v11, -v12
	v_rndne_f32_e32 v14, v12
	s_delay_alu instid0(VALU_DEP_1) | instskip(SKIP_1) | instid1(VALU_DEP_2)
	v_dual_sub_f32 v12, v12, v14 :: v_dual_fmac_f32 v13, 0x32a5705f, v11
	v_cmp_ngt_f32_e64 s2, 0xc2ce8ed0, v11
	v_add_f32_e32 v12, v12, v13
	v_cvt_i32_f32_e32 v13, v14
	s_delay_alu instid0(VALU_DEP_2) | instskip(SKIP_2) | instid1(VALU_DEP_1)
	v_exp_f32_e32 v12, v12
	s_waitcnt_depctr 0xfff
	v_ldexp_f32 v12, v12, v13
	v_cndmask_b32_e64 v12, 0, v12, s2
	v_cmp_nlt_f32_e64 s2, 0x42b17218, v11
	s_delay_alu instid0(VALU_DEP_1) | instskip(SKIP_4) | instid1(SALU_CYCLE_1)
	v_cndmask_b32_e64 v11, 0x7f800000, v12, s2
	v_cmp_le_u32_e64 s2, s19, v10
	ds_store_b32 v9, v11
	v_dual_add_f32 v8, v8, v11 :: v_dual_add_nc_u32 v9, s6, v9
	s_or_b32 s5, s2, s5
	s_and_not1_b32 exec_lo, exec_lo, s5
	s_cbranch_execnz .LBB21_19
; %bb.20:
	s_set_inst_prefetch_distance 0x2
	s_or_b32 exec_lo, exec_lo, s5
.LBB21_21:
	s_delay_alu instid0(SALU_CYCLE_1)
	s_or_b32 exec_lo, exec_lo, s4
	ds_bpermute_b32 v9, v1, v8
	s_waitcnt lgkmcnt(0)
	v_add_f32_e32 v8, v8, v9
	ds_bpermute_b32 v9, v2, v8
	s_waitcnt lgkmcnt(0)
	v_add_f32_e32 v8, v8, v9
	;; [unrolled: 3-line block ×4, first 2 shown]
	ds_bpermute_b32 v9, v5, v8
	s_and_saveexec_b32 s2, vcc_lo
	s_cbranch_execz .LBB21_23
; %bb.22:
	s_waitcnt lgkmcnt(0)
	v_add_f32_e32 v8, v8, v9
	v_lshrrev_b32_e32 v9, 3, v0
	ds_store_b32 v9, v8 offset:128
.LBB21_23:
	s_or_b32 exec_lo, exec_lo, s2
	v_mov_b32_e32 v8, 0
	s_waitcnt lgkmcnt(0)
	s_barrier
	buffer_gl0_inv
	s_and_saveexec_b32 s2, s0
	s_cbranch_execnz .LBB21_28
; %bb.24:
	s_or_b32 exec_lo, exec_lo, s2
	s_and_saveexec_b32 s0, s1
	s_cbranch_execnz .LBB21_29
.LBB21_25:
	s_or_b32 exec_lo, exec_lo, s0
	s_and_saveexec_b32 s0, s3
	s_cbranch_execnz .LBB21_30
	s_branch .LBB21_33
.LBB21_26:
	v_lshlrev_b32_e32 v7, 2, v6
	ds_load_b32 v7, v7
	s_or_b32 exec_lo, exec_lo, s1
	v_cmp_gt_u32_e64 s1, 32, v0
	s_delay_alu instid0(VALU_DEP_1)
	s_and_saveexec_b32 s3, s1
	s_cbranch_execz .LBB21_15
.LBB21_27:
	s_waitcnt lgkmcnt(0)
	ds_bpermute_b32 v8, v1, v7
	s_waitcnt lgkmcnt(0)
	v_dual_max_f32 v7, v7, v7 :: v_dual_max_f32 v8, v8, v8
	s_delay_alu instid0(VALU_DEP_1) | instskip(SKIP_3) | instid1(VALU_DEP_1)
	v_max_f32_e32 v7, v7, v8
	ds_bpermute_b32 v8, v2, v7
	s_waitcnt lgkmcnt(0)
	v_max_f32_e32 v8, v8, v8
	v_max_f32_e32 v7, v7, v8
	ds_bpermute_b32 v8, v3, v7
	s_waitcnt lgkmcnt(0)
	v_max_f32_e32 v8, v8, v8
	s_delay_alu instid0(VALU_DEP_1) | instskip(SKIP_3) | instid1(VALU_DEP_1)
	v_max_f32_e32 v7, v7, v8
	ds_bpermute_b32 v8, v4, v7
	s_waitcnt lgkmcnt(0)
	v_max_f32_e32 v8, v8, v8
	v_max_f32_e32 v7, v7, v8
	ds_bpermute_b32 v8, v5, v7
	s_waitcnt lgkmcnt(0)
	v_max_f32_e32 v8, v8, v8
	s_delay_alu instid0(VALU_DEP_1) | instskip(SKIP_2) | instid1(VALU_DEP_1)
	v_max_f32_e32 v7, v7, v8
	s_or_b32 exec_lo, exec_lo, s3
	v_cmp_eq_u32_e64 s3, 0, v0
	s_and_saveexec_b32 s4, s3
	s_cbranch_execnz .LBB21_16
	s_branch .LBB21_17
.LBB21_28:
	v_lshlrev_b32_e32 v6, 2, v6
	ds_load_b32 v8, v6 offset:128
	s_or_b32 exec_lo, exec_lo, s2
	s_and_saveexec_b32 s0, s1
	s_cbranch_execz .LBB21_25
.LBB21_29:
	s_waitcnt lgkmcnt(0)
	ds_bpermute_b32 v1, v1, v8
	s_waitcnt lgkmcnt(0)
	v_add_f32_e32 v1, v8, v1
	ds_bpermute_b32 v2, v2, v1
	s_waitcnt lgkmcnt(0)
	v_add_f32_e32 v1, v1, v2
	;; [unrolled: 3-line block ×5, first 2 shown]
	s_or_b32 exec_lo, exec_lo, s0
	s_and_saveexec_b32 s0, s3
	s_cbranch_execz .LBB21_33
.LBB21_30:
	s_add_i32 s2, s25, s15
	s_mov_b32 s3, 0
	s_delay_alu instid0(SALU_CYCLE_1) | instskip(NEXT) | instid1(SALU_CYCLE_1)
	s_lshl_b64 s[2:3], s[2:3], 2
	s_add_u32 s2, s10, s2
	s_addc_u32 s3, s11, s3
	s_load_b32 s1, s[2:3], 0x0
	s_waitcnt lgkmcnt(0)
	v_cmp_u_f32_e64 s2, s1, s1
	s_delay_alu instid0(VALU_DEP_1)
	s_and_b32 vcc_lo, exec_lo, s2
	s_cbranch_vccnz .LBB21_46
; %bb.31:
	v_max_f32_e64 v1, s1, s1
	v_max_f32_e32 v2, v7, v7
	s_delay_alu instid0(VALU_DEP_1) | instskip(NEXT) | instid1(VALU_DEP_1)
	v_max_f32_e32 v1, v2, v1
	v_sub_f32_e32 v4, s1, v1
	s_delay_alu instid0(VALU_DEP_1) | instskip(SKIP_1) | instid1(VALU_DEP_2)
	v_mul_f32_e32 v6, 0x3fb8aa3b, v4
	v_sub_f32_e32 v2, v7, v1
	v_rndne_f32_e32 v9, v6
	s_delay_alu instid0(VALU_DEP_2) | instskip(SKIP_1) | instid1(VALU_DEP_2)
	v_mul_f32_e32 v3, 0x3fb8aa3b, v2
	v_cmp_ngt_f32_e32 vcc_lo, 0xc2ce8ed0, v2
	v_fma_f32 v1, 0x3fb8aa3b, v2, -v3
	v_rndne_f32_e32 v5, v3
	s_delay_alu instid0(VALU_DEP_2) | instskip(NEXT) | instid1(VALU_DEP_2)
	v_fmac_f32_e32 v1, 0x32a5705f, v2
	v_sub_f32_e32 v3, v3, v5
	v_fma_f32 v7, 0x3fb8aa3b, v4, -v6
	v_cvt_i32_f32_e32 v5, v5
	s_delay_alu instid0(VALU_DEP_3) | instskip(NEXT) | instid1(VALU_DEP_3)
	v_add_f32_e32 v1, v3, v1
	v_fmac_f32_e32 v7, 0x32a5705f, v4
	v_sub_f32_e32 v3, v6, v9
	s_delay_alu instid0(VALU_DEP_3) | instskip(NEXT) | instid1(VALU_DEP_1)
	v_exp_f32_e32 v1, v1
	v_add_f32_e32 v3, v3, v7
	s_delay_alu instid0(VALU_DEP_1) | instskip(SKIP_3) | instid1(VALU_DEP_2)
	v_exp_f32_e32 v3, v3
	s_waitcnt_depctr 0xfff
	v_ldexp_f32 v1, v1, v5
	v_cvt_i32_f32_e32 v5, v9
	v_cndmask_b32_e32 v1, 0, v1, vcc_lo
	v_cmp_nlt_f32_e32 vcc_lo, 0x42b17218, v2
	s_delay_alu instid0(VALU_DEP_3) | instskip(NEXT) | instid1(VALU_DEP_3)
	v_ldexp_f32 v3, v3, v5
	v_cndmask_b32_e32 v1, 0x7f800000, v1, vcc_lo
	v_cmp_ngt_f32_e32 vcc_lo, 0xc2ce8ed0, v4
	s_delay_alu instid0(VALU_DEP_3) | instskip(SKIP_1) | instid1(VALU_DEP_4)
	v_cndmask_b32_e32 v2, 0, v3, vcc_lo
	v_cmp_lt_f32_e32 vcc_lo, 0, v8
	v_cndmask_b32_e32 v1, 0, v1, vcc_lo
	v_cmp_nlt_f32_e32 vcc_lo, 0x42b17218, v4
	s_delay_alu instid0(VALU_DEP_4) | instskip(NEXT) | instid1(VALU_DEP_1)
	v_cndmask_b32_e32 v2, 0x7f800000, v2, vcc_lo
	v_fmac_f32_e32 v2, v8, v1
	s_delay_alu instid0(VALU_DEP_1)
	v_mov_b32_e32 v8, v2
.LBB21_32:
	s_delay_alu instid0(VALU_DEP_1) | instskip(SKIP_1) | instid1(VALU_DEP_2)
	v_div_scale_f32 v2, null, v8, v8, 1.0
	v_div_scale_f32 v5, vcc_lo, 1.0, v8, 1.0
	v_rcp_f32_e32 v3, v2
	s_waitcnt_depctr 0xfff
	v_fma_f32 v4, -v2, v3, 1.0
	s_delay_alu instid0(VALU_DEP_1) | instskip(NEXT) | instid1(VALU_DEP_1)
	v_fmac_f32_e32 v3, v4, v3
	v_mul_f32_e32 v4, v5, v3
	s_delay_alu instid0(VALU_DEP_1) | instskip(NEXT) | instid1(VALU_DEP_1)
	v_fma_f32 v6, -v2, v4, v5
	v_fmac_f32_e32 v4, v6, v3
	s_delay_alu instid0(VALU_DEP_1) | instskip(NEXT) | instid1(VALU_DEP_1)
	v_fma_f32 v2, -v2, v4, v5
	v_div_fmas_f32 v2, v2, v3, v4
	v_mov_b32_e32 v3, 0
	v_cmp_lt_f32_e32 vcc_lo, 0, v8
	s_delay_alu instid0(VALU_DEP_3) | instskip(NEXT) | instid1(VALU_DEP_1)
	v_div_fixup_f32 v2, v2, v8, 1.0
	v_cndmask_b32_e32 v2, 0, v2, vcc_lo
	ds_store_2addr_b32 v3, v2, v1 offset0:65 offset1:66
.LBB21_33:
	s_or_b32 exec_lo, exec_lo, s0
	s_waitcnt lgkmcnt(0)
	s_barrier
	buffer_gl0_inv
	s_mov_b32 s0, exec_lo
	v_cmpx_gt_u32_e64 s16, v0
	s_cbranch_execz .LBB21_44
; %bb.34:
	s_cmp_lg_u32 s19, 0
	s_mul_i32 s0, s18, 3
	s_cselect_b32 s1, -1, 0
	s_lshl_b64 s[2:3], s[22:23], 2
	v_mov_b32_e32 v1, 0
	s_add_u32 s24, s20, s2
	s_addc_u32 s25, s21, s3
	s_and_b32 s26, s19, 3
	s_cmp_gt_u32 s19, 3
	s_mul_hi_u32 s2, s18, 3
	s_cselect_b32 s27, -1, 0
	s_and_b32 s28, s19, -4
	s_cmp_lg_u32 s26, 0
	s_mov_b32 s3, 0
	s_cselect_b32 s29, -1, 0
	s_add_u32 s0, s0, s12
	s_addc_u32 s2, s2, 0
	s_mul_hi_u32 s4, s0, s16
	s_mul_i32 s2, s2, s16
	s_mul_hi_u32 s23, s18, s16
	s_add_i32 s5, s4, s2
	s_mov_b32 s2, s18
	s_mul_i32 s4, s0, s16
	s_mul_i32 s22, s18, s16
	ds_load_2addr_b32 v[2:3], v1 offset0:65 offset1:66
	s_lshl_b64 s[10:11], s[2:3], 1
	s_lshl_b64 s[4:5], s[4:5], 2
	;; [unrolled: 1-line block ×3, first 2 shown]
	s_add_u32 s0, s10, s12
	s_addc_u32 s10, s11, 0
	s_mul_hi_u32 s11, s0, s16
	s_mul_i32 s10, s10, s16
	s_mul_hi_u32 s19, s12, s16
	s_add_i32 s11, s11, s10
	s_mul_i32 s10, s0, s16
	s_delay_alu instid0(SALU_CYCLE_1)
	s_lshl_b64 s[10:11], s[10:11], 2
	s_add_u32 s0, s12, s18
	s_addc_u32 s14, 0, 0
	s_mul_hi_u32 s15, s0, s16
	s_mul_i32 s14, s14, s16
	s_mul_i32 s18, s12, s16
	s_add_i32 s15, s15, s14
	s_mul_i32 s14, s0, s16
	s_lshl_b64 s[18:19], s[18:19], 2
	s_lshl_b64 s[14:15], s[14:15], 2
	;; [unrolled: 1-line block ×4, first 2 shown]
	s_branch .LBB21_36
.LBB21_35:                              ;   in Loop: Header=BB21_36 Depth=1
	v_add_nc_u32_e32 v0, s13, v0
	s_waitcnt lgkmcnt(0)
	v_mul_f32_e32 v6, v3, v8
	v_add_co_u32 v4, s0, s24, v4
	s_delay_alu instid0(VALU_DEP_1) | instskip(SKIP_1) | instid1(VALU_DEP_4)
	v_add_co_ci_u32_e64 v5, s0, s25, v5, s0
	v_cmp_le_u32_e32 vcc_lo, s16, v0
	v_mul_f32_e32 v6, v2, v6
	s_or_b32 s3, vcc_lo, s3
	global_store_b32 v[4:5], v6, off
	s_and_not1_b32 exec_lo, exec_lo, s3
	s_cbranch_execz .LBB21_44
.LBB21_36:                              ; =>This Loop Header: Depth=1
                                        ;     Child Loop BB21_39 Depth 2
                                        ;     Child Loop BB21_43 Depth 2
	v_lshlrev_b64 v[4:5], 2, v[0:1]
	v_mov_b32_e32 v8, v1
	s_and_not1_b32 vcc_lo, exec_lo, s1
	s_cbranch_vccnz .LBB21_35
; %bb.37:                               ;   in Loop: Header=BB21_36 Depth=1
	s_and_not1_b32 vcc_lo, exec_lo, s27
	s_cbranch_vccnz .LBB21_41
; %bb.38:                               ;   in Loop: Header=BB21_36 Depth=1
	v_add_co_u32 v6, vcc_lo, s8, v4
	v_add_co_ci_u32_e32 v7, vcc_lo, s9, v5, vcc_lo
	v_mov_b32_e32 v8, 0
	s_mov_b32 s0, 0
	s_movk_i32 s17, 0x10c
	s_set_inst_prefetch_distance 0x1
	.p2align	6
.LBB21_39:                              ;   Parent Loop BB21_36 Depth=1
                                        ; =>  This Inner Loop Header: Depth=2
	v_add_co_u32 v9, vcc_lo, v6, s18
	v_add_co_ci_u32_e32 v10, vcc_lo, s19, v7, vcc_lo
	v_add_co_u32 v11, vcc_lo, v6, s14
	v_add_co_ci_u32_e32 v12, vcc_lo, s15, v7, vcc_lo
	global_load_b32 v13, v[9:10], off
	s_add_i32 s0, s0, 4
	global_load_b32 v14, v[11:12], off
	v_add_co_u32 v9, vcc_lo, v6, s10
	v_add_co_ci_u32_e32 v10, vcc_lo, s11, v7, vcc_lo
	v_add_co_u32 v11, vcc_lo, v6, s4
	v_add_co_ci_u32_e32 v12, vcc_lo, s5, v7, vcc_lo
	s_clause 0x1
	global_load_b32 v15, v[9:10], off
	global_load_b32 v16, v[11:12], off
	v_mov_b32_e32 v11, s17
	ds_load_2addr_b32 v[9:10], v11 offset1:1
	ds_load_2addr_b32 v[11:12], v11 offset0:2 offset1:3
	v_add_co_u32 v6, vcc_lo, v6, s6
	v_add_co_ci_u32_e32 v7, vcc_lo, s7, v7, vcc_lo
	s_add_i32 s17, s17, 16
	s_cmp_eq_u32 s28, s0
	s_waitcnt vmcnt(3) lgkmcnt(1)
	v_fmac_f32_e32 v8, v9, v13
	s_waitcnt vmcnt(2)
	s_delay_alu instid0(VALU_DEP_1) | instskip(SKIP_1) | instid1(VALU_DEP_1)
	v_fmac_f32_e32 v8, v10, v14
	s_waitcnt vmcnt(1) lgkmcnt(0)
	v_fmac_f32_e32 v8, v11, v15
	s_waitcnt vmcnt(0)
	s_delay_alu instid0(VALU_DEP_1)
	v_fmac_f32_e32 v8, v12, v16
	s_cbranch_scc0 .LBB21_39
; %bb.40:                               ;   in Loop: Header=BB21_36 Depth=1
	s_set_inst_prefetch_distance 0x2
	s_mov_b32 s17, s28
	s_and_not1_b32 vcc_lo, exec_lo, s29
	s_cbranch_vccz .LBB21_42
	s_branch .LBB21_35
.LBB21_41:                              ;   in Loop: Header=BB21_36 Depth=1
	v_mov_b32_e32 v8, 0
	s_mov_b32 s17, 0
	s_and_not1_b32 vcc_lo, exec_lo, s29
	s_cbranch_vccnz .LBB21_35
.LBB21_42:                              ;   in Loop: Header=BB21_36 Depth=1
	s_lshl_b32 s0, s17, 2
	s_mul_i32 s30, s2, s17
	s_addk_i32 s0, 0x10c
	s_mul_hi_u32 s17, s2, s17
	s_add_u32 s30, s12, s30
	s_addc_u32 s17, 0, s17
	s_mul_hi_u32 s31, s20, s30
	s_mul_i32 s17, s20, s17
	s_delay_alu instid0(SALU_CYCLE_1)
	s_add_i32 s17, s31, s17
	s_mul_i32 s31, s21, s30
	s_mul_i32 s30, s20, s30
	s_add_i32 s17, s17, s31
	s_add_u32 s30, s8, s30
	s_addc_u32 s17, s9, s17
	v_add_co_u32 v6, vcc_lo, s30, v4
	v_add_co_ci_u32_e32 v7, vcc_lo, s17, v5, vcc_lo
	s_mov_b32 s17, s26
.LBB21_43:                              ;   Parent Loop BB21_36 Depth=1
                                        ; =>  This Inner Loop Header: Depth=2
	global_load_b32 v9, v[6:7], off
	v_mov_b32_e32 v10, s0
	v_add_co_u32 v6, vcc_lo, v6, s22
	v_add_co_ci_u32_e32 v7, vcc_lo, s23, v7, vcc_lo
	ds_load_b32 v10, v10
	s_add_i32 s17, s17, -1
	s_add_i32 s0, s0, 4
	s_cmp_lg_u32 s17, 0
	s_waitcnt vmcnt(0) lgkmcnt(0)
	v_fmac_f32_e32 v8, v10, v9
	s_cbranch_scc1 .LBB21_43
	s_branch .LBB21_35
.LBB21_44:
	s_nop 0
	s_sendmsg sendmsg(MSG_DEALLOC_VGPRS)
	s_endpgm
.LBB21_45:
	v_mov_b32_e32 v3, s24
	s_branch .LBB21_2
.LBB21_46:
	v_mov_b32_e32 v1, 1.0
	s_branch .LBB21_32
	.section	.rodata,"a",@progbits
	.p2align	6, 0x0
	.amdhsa_kernel naive_attention
		.amdhsa_group_segment_fixed_size 268
		.amdhsa_private_segment_fixed_size 0
		.amdhsa_kernarg_size 320
		.amdhsa_user_sgpr_count 15
		.amdhsa_user_sgpr_dispatch_ptr 0
		.amdhsa_user_sgpr_queue_ptr 0
		.amdhsa_user_sgpr_kernarg_segment_ptr 1
		.amdhsa_user_sgpr_dispatch_id 0
		.amdhsa_user_sgpr_private_segment_size 0
		.amdhsa_wavefront_size32 1
		.amdhsa_uses_dynamic_stack 0
		.amdhsa_enable_private_segment 0
		.amdhsa_system_sgpr_workgroup_id_x 1
		.amdhsa_system_sgpr_workgroup_id_y 0
		.amdhsa_system_sgpr_workgroup_id_z 0
		.amdhsa_system_sgpr_workgroup_info 0
		.amdhsa_system_vgpr_workitem_id 0
		.amdhsa_next_free_vgpr 17
		.amdhsa_next_free_sgpr 34
		.amdhsa_reserve_vcc 1
		.amdhsa_float_round_mode_32 0
		.amdhsa_float_round_mode_16_64 0
		.amdhsa_float_denorm_mode_32 3
		.amdhsa_float_denorm_mode_16_64 3
		.amdhsa_dx10_clamp 1
		.amdhsa_ieee_mode 1
		.amdhsa_fp16_overflow 0
		.amdhsa_workgroup_processor_mode 1
		.amdhsa_memory_ordered 1
		.amdhsa_forward_progress 0
		.amdhsa_shared_vgpr_count 0
		.amdhsa_exception_fp_ieee_invalid_op 0
		.amdhsa_exception_fp_denorm_src 0
		.amdhsa_exception_fp_ieee_div_zero 0
		.amdhsa_exception_fp_ieee_overflow 0
		.amdhsa_exception_fp_ieee_underflow 0
		.amdhsa_exception_fp_ieee_inexact 0
		.amdhsa_exception_int_div_zero 0
	.end_amdhsa_kernel
	.text
.Lfunc_end21:
	.size	naive_attention, .Lfunc_end21-naive_attention
                                        ; -- End function
	.section	.AMDGPU.csdata,"",@progbits
; Kernel info:
; codeLenInByte = 2928
; NumSgprs: 36
; NumVgprs: 17
; ScratchSize: 0
; MemoryBound: 0
; FloatMode: 240
; IeeeMode: 1
; LDSByteSize: 268 bytes/workgroup (compile time only)
; SGPRBlocks: 4
; VGPRBlocks: 2
; NumSGPRsForWavesPerEU: 36
; NumVGPRsForWavesPerEU: 17
; Occupancy: 16
; WaveLimiterHint : 0
; COMPUTE_PGM_RSRC2:SCRATCH_EN: 0
; COMPUTE_PGM_RSRC2:USER_SGPR: 15
; COMPUTE_PGM_RSRC2:TRAP_HANDLER: 0
; COMPUTE_PGM_RSRC2:TGID_X_EN: 1
; COMPUTE_PGM_RSRC2:TGID_Y_EN: 0
; COMPUTE_PGM_RSRC2:TGID_Z_EN: 0
; COMPUTE_PGM_RSRC2:TIDIG_COMP_CNT: 0
	.text
	.protected	ssm_delta_net           ; -- Begin function ssm_delta_net
	.globl	ssm_delta_net
	.p2align	8
	.type	ssm_delta_net,@function
ssm_delta_net:                          ; @ssm_delta_net
; %bb.0:
	s_load_b128 s[36:39], s[0:1], 0x3c
	s_add_u32 s12, s0, 56
	s_addc_u32 s13, s1, 0
	s_waitcnt lgkmcnt(0)
	s_cmp_lt_u32 s14, s36
	s_cselect_b32 s2, -1, 0
	s_cmp_lt_u32 s15, s37
	s_cselect_b32 s3, -1, 0
	s_delay_alu instid0(SALU_CYCLE_1) | instskip(NEXT) | instid1(SALU_CYCLE_1)
	s_and_b32 s2, s2, s3
	s_and_not1_b32 vcc_lo, exec_lo, s2
	s_cbranch_vccnz .LBB22_79
; %bb.1:
	s_load_b256 s[16:23], s[0:1], 0x20
	s_waitcnt lgkmcnt(0)
	s_mul_i32 s22, s37, s14
	s_mul_hi_u32 s2, s37, s14
	s_add_u32 s4, s22, s15
	s_addc_u32 s2, s2, 0
	s_mul_hi_u32 s3, s4, s37
	s_mul_i32 s2, s2, s37
	v_lshlrev_b32_e32 v1, 2, v0
	s_add_i32 s3, s3, s2
	s_mul_i32 s2, s4, s37
	s_mov_b32 s5, s15
	s_lshl_b64 s[2:3], s[2:3], 2
	s_mov_b32 s15, 0
	s_add_u32 s2, s18, s2
	s_addc_u32 s3, s19, s3
	s_mov_b32 s19, s15
	global_load_b32 v9, v1, s[2:3]
	s_clause 0x4
	s_load_b64 s[6:7], s[0:1], 0x4c
	s_load_b32 s4, s[0:1], 0x54
	s_load_b256 s[24:31], s[0:1], 0x0
	s_load_b128 s[8:11], s[12:13], 0x20
	s_load_b32 s18, s[12:13], 0x30
	s_waitcnt lgkmcnt(0)
	s_cmp_eq_u32 s4, 0
	s_cbranch_scc1 .LBB22_15
; %bb.2:
	s_cmp_eq_u32 s7, 0
	s_cbranch_scc1 .LBB22_5
; %bb.3:
	s_lshl_b64 s[12:13], s[14:15], 1
	v_mov_b32_e32 v2, 0
	s_add_u32 s12, s26, s12
	s_addc_u32 s13, s27, s13
	global_load_u16 v2, v2, s[12:13]
	s_waitcnt vmcnt(0)
	v_readfirstlane_b32 s7, v2
	s_delay_alu instid0(VALU_DEP_1)
	s_bfe_u32 s12, s7, 0x5000a
	s_lshr_b32 s4, s7, 15
	s_cmp_gt_i32 s12, 30
	s_cbranch_scc0 .LBB22_6
; %bb.4:
	s_lshl_b32 s13, s4, 31
	s_lshl_b32 s19, s7, 13
	s_delay_alu instid0(SALU_CYCLE_1) | instskip(NEXT) | instid1(SALU_CYCLE_1)
	s_or_b32 s13, s13, s19
	s_or_b32 s19, s13, 0x7f800000
	s_cbranch_execz .LBB22_7
	s_branch .LBB22_13
.LBB22_5:
                                        ; implicit-def: $sgpr19
	s_cbranch_execnz .LBB22_14
	s_branch .LBB22_15
.LBB22_6:
                                        ; implicit-def: $sgpr19
.LBB22_7:
	s_and_b32 s13, s7, 0x3ff
	s_cmp_lg_u32 s12, 0
	s_mov_b32 s23, 0
	s_cbranch_scc0 .LBB22_9
; %bb.8:
	s_lshl_b32 s19, s4, 31
	s_lshl_b32 s12, s12, 23
	s_delay_alu instid0(SALU_CYCLE_1) | instskip(SKIP_1) | instid1(SALU_CYCLE_1)
	s_or_b32 s12, s12, s19
	s_lshl_b32 s19, s13, 13
	s_or_b32 s12, s12, s19
	s_delay_alu instid0(SALU_CYCLE_1)
	s_add_i32 s19, s12, 0x38000000
	s_and_not1_b32 vcc_lo, exec_lo, s23
	s_cbranch_vccz .LBB22_10
	s_branch .LBB22_13
.LBB22_9:
                                        ; implicit-def: $sgpr19
.LBB22_10:
	s_cmp_eq_u32 s13, 0
	s_mov_b32 s12, 0
	s_cbranch_scc1 .LBB22_26
; %bb.11:
	s_clz_i32_u32 s13, s13
	s_delay_alu instid0(SALU_CYCLE_1) | instskip(SKIP_2) | instid1(SALU_CYCLE_1)
	s_xor_b32 s19, s13, 31
	s_lshl_b32 s13, s13, 23
	s_sub_i32 s19, 9, s19
	s_lshl_b32 s7, s7, s19
	s_lshl_b32 s19, s4, 31
	;; [unrolled: 1-line block ×3, first 2 shown]
	s_delay_alu instid0(SALU_CYCLE_1) | instskip(NEXT) | instid1(SALU_CYCLE_1)
	s_and_b32 s7, s7, 0x7fc000
	s_or_b32 s7, s7, s19
	s_delay_alu instid0(SALU_CYCLE_1) | instskip(NEXT) | instid1(SALU_CYCLE_1)
	s_sub_i32 s7, s7, s13
	s_add_i32 s19, s7, 0x43000000
	s_and_not1_b32 vcc_lo, exec_lo, s12
	s_cbranch_vccnz .LBB22_13
.LBB22_12:
	s_lshl_b32 s19, s4, 31
.LBB22_13:
	s_branch .LBB22_15
.LBB22_14:
	s_lshl_b64 s[12:13], s[14:15], 2
	s_delay_alu instid0(SALU_CYCLE_1)
	s_add_u32 s12, s26, s12
	s_addc_u32 s13, s27, s13
	s_load_b32 s19, s[12:13], 0x0
.LBB22_15:
	s_cmp_eq_u32 s8, 0
	s_cselect_b32 s8, -1, 0
	s_delay_alu instid0(SALU_CYCLE_1)
	s_and_b32 vcc_lo, exec_lo, s8
	s_cbranch_vccnz .LBB22_33
; %bb.16:
	s_cmp_eq_u32 s6, 0
	s_cbranch_scc1 .LBB22_19
; %bb.17:
	s_lshl_b64 s[6:7], s[14:15], 1
	v_mov_b32_e32 v2, 0
	s_add_u32 s6, s16, s6
	s_addc_u32 s7, s17, s7
	global_load_u16 v2, v2, s[6:7]
	s_waitcnt vmcnt(0)
	v_readfirstlane_b32 s7, v2
	s_delay_alu instid0(VALU_DEP_1)
	s_bfe_u32 s12, s7, 0x5000a
	s_lshr_b32 s4, s7, 15
	s_cmp_gt_i32 s12, 30
	s_cbranch_scc0 .LBB22_20
; %bb.18:
	s_lshl_b32 s6, s4, 31
	s_lshl_b32 s13, s7, 13
	s_delay_alu instid0(SALU_CYCLE_1) | instskip(NEXT) | instid1(SALU_CYCLE_1)
	s_or_b32 s6, s6, s13
	s_or_b32 s6, s6, 0x7f800000
	s_cbranch_execz .LBB22_21
	s_branch .LBB22_30
.LBB22_19:
                                        ; implicit-def: $sgpr6
	s_cbranch_execnz .LBB22_31
	s_branch .LBB22_32
.LBB22_20:
                                        ; implicit-def: $sgpr6
.LBB22_21:
	s_and_b32 s13, s7, 0x3ff
	s_cmp_lg_u32 s12, 0
	s_mov_b32 s23, 0
	s_cbranch_scc0 .LBB22_23
; %bb.22:
	s_lshl_b32 s6, s4, 31
	s_lshl_b32 s12, s12, 23
	s_delay_alu instid0(SALU_CYCLE_1) | instskip(SKIP_1) | instid1(SALU_CYCLE_1)
	s_or_b32 s6, s12, s6
	s_lshl_b32 s12, s13, 13
	s_or_b32 s6, s6, s12
	s_delay_alu instid0(SALU_CYCLE_1)
	s_add_i32 s6, s6, 0x38000000
	s_and_not1_b32 vcc_lo, exec_lo, s23
	s_cbranch_vccz .LBB22_24
	s_branch .LBB22_30
.LBB22_23:
                                        ; implicit-def: $sgpr6
.LBB22_24:
	s_cmp_eq_u32 s13, 0
	s_mov_b32 s12, 0
	s_cbranch_scc1 .LBB22_27
; %bb.25:
	s_clz_i32_u32 s6, s13
	s_delay_alu instid0(SALU_CYCLE_1) | instskip(SKIP_2) | instid1(SALU_CYCLE_1)
	s_xor_b32 s13, s6, 31
	s_lshl_b32 s6, s6, 23
	s_sub_i32 s13, 9, s13
	s_lshl_b32 s7, s7, s13
	s_lshl_b32 s13, s4, 31
	;; [unrolled: 1-line block ×3, first 2 shown]
	s_delay_alu instid0(SALU_CYCLE_1) | instskip(NEXT) | instid1(SALU_CYCLE_1)
	s_and_b32 s7, s7, 0x7fc000
	s_or_b32 s7, s7, s13
	s_delay_alu instid0(SALU_CYCLE_1) | instskip(NEXT) | instid1(SALU_CYCLE_1)
	s_sub_i32 s6, s7, s6
	s_add_i32 s6, s6, 0x43000000
	s_branch .LBB22_28
.LBB22_26:
                                        ; implicit-def: $sgpr19
	s_branch .LBB22_12
.LBB22_27:
	s_mov_b32 s12, -1
                                        ; implicit-def: $sgpr6
.LBB22_28:
	s_delay_alu instid0(SALU_CYCLE_1)
	s_and_not1_b32 vcc_lo, exec_lo, s12
	s_cbranch_vccnz .LBB22_30
; %bb.29:
	s_lshl_b32 s6, s4, 31
.LBB22_30:
	s_branch .LBB22_32
.LBB22_31:
	s_lshl_b64 s[6:7], s[14:15], 2
	s_delay_alu instid0(SALU_CYCLE_1)
	s_add_u32 s6, s16, s6
	s_addc_u32 s7, s17, s7
	s_load_b32 s6, s[6:7], 0x0
.LBB22_32:
	s_waitcnt lgkmcnt(0)
	s_mov_b32 s15, s6
.LBB22_33:
	v_add_co_u32 v1, s2, s2, v1
	s_delay_alu instid0(VALU_DEP_1)
	v_add_co_ci_u32_e64 v2, null, s3, 0, s2
	s_cmp_eq_u32 s39, s36
	s_mov_b32 s6, s14
	s_cbranch_scc1 .LBB22_35
; %bb.34:
	v_cvt_f32_u32_e32 v3, s39
	s_sub_i32 s3, 0, s39
	s_delay_alu instid0(VALU_DEP_1) | instskip(SKIP_2) | instid1(VALU_DEP_1)
	v_rcp_iflag_f32_e32 v3, v3
	s_waitcnt_depctr 0xfff
	v_mul_f32_e32 v3, 0x4f7ffffe, v3
	v_cvt_u32_f32_e32 v3, v3
	s_delay_alu instid0(VALU_DEP_1) | instskip(NEXT) | instid1(VALU_DEP_1)
	v_readfirstlane_b32 s2, v3
	s_mul_i32 s3, s3, s2
	s_delay_alu instid0(SALU_CYCLE_1) | instskip(NEXT) | instid1(SALU_CYCLE_1)
	s_mul_hi_u32 s3, s2, s3
	s_add_i32 s2, s2, s3
	s_delay_alu instid0(SALU_CYCLE_1) | instskip(NEXT) | instid1(SALU_CYCLE_1)
	s_mul_hi_u32 s2, s14, s2
	s_mul_i32 s2, s2, s39
	s_delay_alu instid0(SALU_CYCLE_1) | instskip(NEXT) | instid1(SALU_CYCLE_1)
	s_sub_i32 s2, s14, s2
	s_sub_i32 s3, s2, s39
	s_cmp_ge_u32 s2, s39
	s_cselect_b32 s2, s3, s2
	s_delay_alu instid0(SALU_CYCLE_1)
	s_sub_i32 s3, s2, s39
	s_cmp_ge_u32 s2, s39
	s_cselect_b32 s6, s3, s2
.LBB22_35:
	s_cmp_eq_u32 s9, 0
	s_mov_b32 s7, 0
	s_cbranch_scc1 .LBB22_78
; %bb.36:
	v_cvt_f32_u32_e32 v3, s38
	v_mbcnt_lo_u32_b32 v6, -1, 0
	s_mul_i32 s2, s39, s38
	s_min_u32 s3, s37, s38
	s_lshl_b32 s13, s2, 1
	v_dual_mul_f32 v4, 0x4f800000, v3 :: v_dual_and_b32 v5, 31, v0
	v_cmp_gt_f32_e32 vcc_lo, 0xf800000, v3
	v_cmp_gt_u32_e64 s2, s3, v0
	v_cmp_gt_u32_e64 s3, 16, v6
	s_load_b32 s12, s[0:1], 0x7c
	v_lshlrev_b32_e32 v11, 2, v5
	v_cndmask_b32_e32 v7, v3, v4, vcc_lo
	v_lshrrev_b32_e32 v10, 3, v0
	v_cndmask_b32_e64 v4, 0, 1, s3
	v_cmp_gt_u32_e64 s3, 24, v6
	v_cmp_gt_u32_e64 s0, 32, v0
	v_sqrt_f32_e32 v3, v7
	v_cmp_eq_u32_e64 s1, 0, v0
	v_lshlrev_b32_e32 v4, 4, v4
	v_cndmask_b32_e64 v8, 0, 1, s3
	v_cmp_gt_u32_e64 s3, 28, v6
	s_mov_b32 s23, 0
	s_mov_b32 s16, s14
	s_delay_alu instid0(VALU_DEP_1) | instskip(SKIP_4) | instid1(VALU_DEP_3)
	v_cndmask_b32_e64 v12, 0, 1, s3
	s_waitcnt_depctr 0xfff
	v_add_nc_u32_e32 v14, -1, v3
	v_cmp_gt_u32_e64 s3, 30, v6
	v_add_nc_u32_e32 v16, 1, v3
	v_fma_f32 v17, -v14, v3, v7
	s_delay_alu instid0(VALU_DEP_3) | instskip(SKIP_1) | instid1(VALU_DEP_3)
	v_cndmask_b32_e64 v13, 0, 1, s3
	v_cmp_ne_u32_e64 s3, 31, v6
	v_cmp_ge_f32_e64 s4, 0, v17
	v_lshlrev_b32_e32 v17, 2, v12
	s_delay_alu instid0(VALU_DEP_3)
	v_add_co_ci_u32_e64 v15, s3, 0, v6, s3
	v_cmp_eq_u32_e64 s3, 0, v5
	v_lshlrev_b32_e32 v5, 3, v8
	v_fma_f32 v8, -v16, v3, v7
	v_cndmask_b32_e64 v3, v3, v14, s4
	v_lshlrev_b32_e32 v18, 1, v13
	v_add_lshl_u32 v13, v4, v6, 2
	v_lshlrev_b32_e32 v12, 2, v15
	v_cmp_lt_f32_e64 s4, 0, v8
	v_add_lshl_u32 v14, v5, v6, 2
	v_add_lshl_u32 v15, v17, v6, 2
	s_delay_alu instid0(VALU_DEP_3)
	v_cndmask_b32_e64 v3, v3, v16, s4
	s_waitcnt lgkmcnt(0)
	s_and_b32 s4, s12, 0xffff
	s_add_i32 s12, s6, s39
	v_add_lshl_u32 v16, v18, v6, 2
	s_add_i32 s4, s4, 31
	v_mul_f32_e32 v4, 0x37800000, v3
	s_lshr_b32 s4, s4, 5
	s_delay_alu instid0(SALU_CYCLE_1) | instskip(NEXT) | instid1(VALU_DEP_2)
	v_cmp_gt_u32_e64 s4, s4, v0
	v_cndmask_b32_e32 v6, v3, v4, vcc_lo
	v_cmp_class_f32_e64 vcc_lo, v7, 0x260
	v_mad_u64_u32 v[3:4], null, s38, s12, v[0:1]
	v_mad_u64_u32 v[4:5], null, s6, s38, v[0:1]
	s_delay_alu instid0(VALU_DEP_4) | instskip(SKIP_2) | instid1(SALU_CYCLE_1)
	v_cndmask_b32_e32 v0, v6, v7, vcc_lo
	v_mov_b32_e32 v6, 0
	s_add_i32 s12, s5, s22
	s_add_i32 s22, s12, s13
	s_branch .LBB22_38
.LBB22_37:                              ;   in Loop: Header=BB22_38 Depth=1
	s_or_b32 exec_lo, exec_lo, s5
	v_cndmask_b32_e64 v9, v5, v7, s2
	s_add_i32 s9, s9, -1
	s_add_i32 s12, s12, s18
	s_add_i32 s16, s16, s11
	;; [unrolled: 1-line block ×3, first 2 shown]
	s_cmp_eq_u32 s9, 0
	s_waitcnt_vscnt null, 0x0
	s_barrier
	buffer_gl0_inv
	s_cbranch_scc1 .LBB22_78
.LBB22_38:                              ; =>This Inner Loop Header: Depth=1
	v_mov_b32_e32 v17, 0
	s_and_saveexec_b32 s5, s2
	s_cbranch_execz .LBB22_40
; %bb.39:                               ;   in Loop: Header=BB22_38 Depth=1
	v_add_nc_u32_e32 v5, s23, v4
	s_delay_alu instid0(VALU_DEP_1) | instskip(NEXT) | instid1(VALU_DEP_1)
	v_lshlrev_b64 v[7:8], 2, v[5:6]
	v_add_co_u32 v7, vcc_lo, s24, v7
	s_delay_alu instid0(VALU_DEP_2)
	v_add_co_ci_u32_e32 v8, vcc_lo, s25, v8, vcc_lo
	global_load_b32 v17, v[7:8], off
.LBB22_40:                              ;   in Loop: Header=BB22_38 Depth=1
	s_or_b32 exec_lo, exec_lo, s5
	v_mov_b32_e32 v5, 0
	s_and_saveexec_b32 s5, s2
	s_cbranch_execz .LBB22_42
; %bb.41:                               ;   in Loop: Header=BB22_38 Depth=1
	v_add_nc_u32_e32 v5, s23, v3
	s_delay_alu instid0(VALU_DEP_1) | instskip(NEXT) | instid1(VALU_DEP_1)
	v_lshlrev_b64 v[7:8], 2, v[5:6]
	v_add_co_u32 v7, vcc_lo, s24, v7
	s_delay_alu instid0(VALU_DEP_2)
	v_add_co_ci_u32_e32 v8, vcc_lo, s25, v8, vcc_lo
	global_load_b32 v5, v[7:8], off
.LBB22_42:                              ;   in Loop: Header=BB22_38 Depth=1
	s_or_b32 exec_lo, exec_lo, s5
	s_waitcnt vmcnt(0)
	v_mul_f32_e32 v7, v17, v17
	ds_bpermute_b32 v7, v13, v7
	s_waitcnt lgkmcnt(0)
	v_fmac_f32_e32 v7, v17, v17
	ds_bpermute_b32 v8, v14, v7
	s_waitcnt lgkmcnt(0)
	v_add_f32_e32 v7, v7, v8
	ds_bpermute_b32 v8, v15, v7
	s_waitcnt lgkmcnt(0)
	v_add_f32_e32 v7, v7, v8
	;; [unrolled: 3-line block ×3, first 2 shown]
	ds_bpermute_b32 v8, v12, v7
	s_and_saveexec_b32 s5, s3
	s_cbranch_execz .LBB22_44
; %bb.43:                               ;   in Loop: Header=BB22_38 Depth=1
	s_waitcnt lgkmcnt(0)
	v_add_f32_e32 v7, v7, v8
	ds_store_b32 v10, v7
.LBB22_44:                              ;   in Loop: Header=BB22_38 Depth=1
	s_or_b32 exec_lo, exec_lo, s5
	v_mov_b32_e32 v7, 0
	s_waitcnt lgkmcnt(0)
	s_barrier
	buffer_gl0_inv
	s_and_saveexec_b32 s5, s4
	s_cbranch_execnz .LBB22_70
; %bb.45:                               ;   in Loop: Header=BB22_38 Depth=1
	s_or_b32 exec_lo, exec_lo, s5
	s_and_saveexec_b32 s5, s0
	s_cbranch_execnz .LBB22_71
.LBB22_46:                              ;   in Loop: Header=BB22_38 Depth=1
	s_or_b32 exec_lo, exec_lo, s5
	s_and_saveexec_b32 s5, s1
	s_cbranch_execz .LBB22_48
.LBB22_47:                              ;   in Loop: Header=BB22_38 Depth=1
	s_waitcnt lgkmcnt(0)
	ds_store_b32 v6, v7 offset:136
.LBB22_48:                              ;   in Loop: Header=BB22_38 Depth=1
	s_or_b32 exec_lo, exec_lo, s5
	s_waitcnt lgkmcnt(0)
	v_mul_f32_e32 v7, v5, v5
	s_barrier
	buffer_gl0_inv
	ds_load_b32 v18, v6 offset:136
	ds_bpermute_b32 v7, v13, v7
	s_waitcnt lgkmcnt(0)
	s_barrier
	buffer_gl0_inv
	v_fmac_f32_e32 v7, v5, v5
	ds_bpermute_b32 v8, v14, v7
	s_waitcnt lgkmcnt(0)
	v_add_f32_e32 v7, v7, v8
	ds_bpermute_b32 v8, v15, v7
	s_waitcnt lgkmcnt(0)
	v_add_f32_e32 v7, v7, v8
	;; [unrolled: 3-line block ×3, first 2 shown]
	ds_bpermute_b32 v8, v12, v7
	s_and_saveexec_b32 s5, s3
	s_cbranch_execz .LBB22_50
; %bb.49:                               ;   in Loop: Header=BB22_38 Depth=1
	s_waitcnt lgkmcnt(0)
	v_add_f32_e32 v7, v7, v8
	ds_store_b32 v10, v7
.LBB22_50:                              ;   in Loop: Header=BB22_38 Depth=1
	s_or_b32 exec_lo, exec_lo, s5
	v_mov_b32_e32 v7, 0
	s_waitcnt lgkmcnt(0)
	s_barrier
	buffer_gl0_inv
	s_and_saveexec_b32 s5, s4
	s_cbranch_execnz .LBB22_72
; %bb.51:                               ;   in Loop: Header=BB22_38 Depth=1
	s_or_b32 exec_lo, exec_lo, s5
	s_and_saveexec_b32 s5, s0
	s_cbranch_execnz .LBB22_73
.LBB22_52:                              ;   in Loop: Header=BB22_38 Depth=1
	s_or_b32 exec_lo, exec_lo, s5
	s_and_saveexec_b32 s5, s1
	s_cbranch_execz .LBB22_54
.LBB22_53:                              ;   in Loop: Header=BB22_38 Depth=1
	s_waitcnt lgkmcnt(0)
	ds_store_b32 v6, v7 offset:136
.LBB22_54:                              ;   in Loop: Header=BB22_38 Depth=1
	s_or_b32 exec_lo, exec_lo, s5
	s_waitcnt lgkmcnt(0)
	s_barrier
	buffer_gl0_inv
	ds_load_b32 v7, v6 offset:136
	s_waitcnt lgkmcnt(0)
	s_barrier
	buffer_gl0_inv
	s_and_saveexec_b32 s6, s1
	s_cbranch_execz .LBB22_56
; %bb.55:                               ;   in Loop: Header=BB22_38 Depth=1
	s_mov_b32 s17, s7
	s_delay_alu instid0(SALU_CYCLE_1) | instskip(NEXT) | instid1(SALU_CYCLE_1)
	s_lshl_b64 s[26:27], s[16:17], 2
	s_add_u32 s34, s28, s26
	s_addc_u32 s35, s29, s27
	s_add_u32 s26, s30, s26
	global_load_b32 v8, v6, s[34:35]
	s_addc_u32 s27, s31, s27
	global_load_b32 v19, v6, s[26:27]
	s_waitcnt vmcnt(1)
	v_add_f32_e32 v8, s19, v8
	s_waitcnt vmcnt(0)
	v_cmp_nlt_f32_e64 s5, 0x42ce8ed0, v19
	s_delay_alu instid0(VALU_DEP_2) | instskip(NEXT) | instid1(VALU_DEP_1)
	v_mul_f32_e32 v20, 0x3fb8aa3b, v8
	v_fma_f32 v21, 0x3fb8aa3b, v8, -v20
	v_rndne_f32_e32 v22, v20
	s_delay_alu instid0(VALU_DEP_1) | instskip(NEXT) | instid1(VALU_DEP_1)
	v_dual_fmac_f32 v21, 0x32a5705f, v8 :: v_dual_sub_f32 v20, v20, v22
	v_add_f32_e32 v20, v20, v21
	v_cvt_i32_f32_e32 v21, v22
	s_delay_alu instid0(VALU_DEP_2) | instskip(SKIP_4) | instid1(VALU_DEP_2)
	v_exp_f32_e32 v20, v20
	s_waitcnt_depctr 0xfff
	v_ldexp_f32 v20, v20, v21
	v_mul_f32_e32 v21, 0xbfb8aa3b, v19
	v_cmp_ngt_f32_e32 vcc_lo, 0xc2ce8ed0, v8
	v_rndne_f32_e32 v22, v21
	s_delay_alu instid0(VALU_DEP_4) | instskip(SKIP_1) | instid1(VALU_DEP_2)
	v_cndmask_b32_e32 v20, 0, v20, vcc_lo
	v_cmp_nlt_f32_e32 vcc_lo, 0x42b17218, v8
	v_cndmask_b32_e32 v8, 0x7f800000, v20, vcc_lo
	s_delay_alu instid0(VALU_DEP_1) | instskip(NEXT) | instid1(VALU_DEP_1)
	v_add_f32_e32 v8, 1.0, v8
	v_cmp_gt_f32_e32 vcc_lo, 0x800000, v8
	v_cndmask_b32_e64 v20, 1.0, 0x4f800000, vcc_lo
	s_delay_alu instid0(VALU_DEP_1) | instskip(SKIP_3) | instid1(VALU_DEP_4)
	v_mul_f32_e32 v8, v8, v20
	v_fma_f32 v20, 0xbfb8aa3b, v19, -v21
	v_sub_f32_e32 v21, v21, v22
	v_cvt_i32_f32_e32 v22, v22
	v_log_f32_e32 v8, v8
	s_delay_alu instid0(VALU_DEP_3) | instskip(NEXT) | instid1(VALU_DEP_1)
	v_fmac_f32_e32 v20, 0xb2a5705f, v19
	v_add_f32_e32 v20, v21, v20
	s_waitcnt_depctr 0xfff
	v_mul_f32_e32 v21, 0x3f317217, v8
	v_exp_f32_e32 v20, v20
	s_delay_alu instid0(VALU_DEP_1)
	v_fma_f32 v23, 0x3f317217, v8, -v21
	s_waitcnt_depctr 0xfff
	v_ldexp_f32 v20, v20, v22
	v_cndmask_b32_e64 v22, 0, 0x41b17218, vcc_lo
	v_cmp_gt_f32_e64 vcc_lo, 0x7f800000, |v8|
	v_fmac_f32_e32 v23, 0x3377d1cf, v8
	s_delay_alu instid0(VALU_DEP_4) | instskip(NEXT) | instid1(VALU_DEP_2)
	v_cndmask_b32_e64 v20, 0, v20, s5
	v_add_f32_e32 v21, v21, v23
	s_delay_alu instid0(VALU_DEP_1) | instskip(SKIP_1) | instid1(VALU_DEP_2)
	v_cndmask_b32_e32 v8, v8, v21, vcc_lo
	v_cmp_ngt_f32_e32 vcc_lo, 0xc2b17218, v19
	v_dual_sub_f32 v8, v8, v22 :: v_dual_cndmask_b32 v19, 0x7f800000, v20
	s_delay_alu instid0(VALU_DEP_1) | instskip(NEXT) | instid1(VALU_DEP_1)
	v_dual_mul_f32 v20, s15, v8 :: v_dual_add_f32 v19, 1.0, v19
	v_cndmask_b32_e64 v8, v20, -v8, s8
	s_delay_alu instid0(VALU_DEP_2) | instskip(SKIP_1) | instid1(VALU_DEP_3)
	v_div_scale_f32 v21, null, v19, v19, 1.0
	v_div_scale_f32 v26, vcc_lo, 1.0, v19, 1.0
	v_mul_f32_e32 v22, 0x3fb8aa3b, v8
	s_delay_alu instid0(VALU_DEP_3) | instskip(SKIP_1) | instid1(VALU_DEP_2)
	v_rcp_f32_e32 v20, v21
	v_cmp_ngt_f32_e64 s5, 0xc2ce8ed0, v8
	v_fma_f32 v23, 0x3fb8aa3b, v8, -v22
	v_rndne_f32_e32 v24, v22
	s_delay_alu instid0(VALU_DEP_2) | instskip(SKIP_4) | instid1(VALU_DEP_3)
	v_fmac_f32_e32 v23, 0x32a5705f, v8
	s_waitcnt_depctr 0xfff
	v_fma_f32 v25, -v21, v20, 1.0
	v_sub_f32_e32 v22, v22, v24
	v_cvt_i32_f32_e32 v24, v24
	v_fmac_f32_e32 v20, v25, v20
	s_delay_alu instid0(VALU_DEP_3) | instskip(NEXT) | instid1(VALU_DEP_2)
	v_add_f32_e32 v22, v22, v23
	v_mul_f32_e32 v23, v26, v20
	s_delay_alu instid0(VALU_DEP_1) | instskip(NEXT) | instid1(VALU_DEP_1)
	v_fma_f32 v25, -v21, v23, v26
	v_fmac_f32_e32 v23, v25, v20
	s_delay_alu instid0(VALU_DEP_4) | instskip(NEXT) | instid1(VALU_DEP_1)
	v_exp_f32_e32 v22, v22
	v_fma_f32 v21, -v21, v23, v26
	s_delay_alu instid0(VALU_DEP_1) | instskip(SKIP_4) | instid1(VALU_DEP_3)
	v_div_fmas_f32 v21, v21, v20, v23
	s_waitcnt_depctr 0xfff
	v_ldexp_f32 v22, v22, v24
	v_cmp_nlt_f32_e32 vcc_lo, 0x42b17218, v8
	v_div_fixup_f32 v19, v21, v19, 1.0
	v_cndmask_b32_e64 v22, 0, v22, s5
	s_delay_alu instid0(VALU_DEP_1)
	v_cndmask_b32_e32 v20, 0x7f800000, v22, vcc_lo
	ds_store_b64 v6, v[19:20] offset:128
.LBB22_56:                              ;   in Loop: Header=BB22_38 Depth=1
	s_or_b32 exec_lo, exec_lo, s6
	s_add_i32 s6, s22, s23
	s_waitcnt lgkmcnt(0)
	s_lshl_b64 s[26:27], s[6:7], 2
	s_barrier
	s_add_u32 s26, s24, s26
	s_addc_u32 s27, s25, s27
	buffer_gl0_inv
	global_load_b32 v19, v6, s[26:27]
	v_max_f32_e32 v20, v7, v7
	ds_load_b64 v[7:8], v6 offset:128
	v_max_f32_e32 v20, 0x2b8cbccc, v20
	s_delay_alu instid0(VALU_DEP_1) | instskip(SKIP_4) | instid1(VALU_DEP_1)
	v_rsq_f32_e32 v20, v20
	s_waitcnt_depctr 0xfff
	v_mul_f32_e32 v20, v5, v20
	s_waitcnt lgkmcnt(0)
	v_mul_f32_e32 v5, v9, v8
	v_mul_f32_e32 v8, v20, v5
	s_delay_alu instid0(VALU_DEP_1)
	v_cndmask_b32_e64 v8, 0, v8, s2
	ds_bpermute_b32 v9, v13, v8
	s_waitcnt lgkmcnt(0)
	v_add_f32_e32 v8, v8, v9
	ds_bpermute_b32 v9, v14, v8
	s_waitcnt lgkmcnt(0)
	v_add_f32_e32 v8, v8, v9
	ds_bpermute_b32 v9, v15, v8
	s_waitcnt lgkmcnt(0)
	v_add_f32_e32 v8, v8, v9
	ds_bpermute_b32 v9, v16, v8
	s_waitcnt lgkmcnt(0)
	v_add_f32_e32 v8, v8, v9
	ds_bpermute_b32 v9, v12, v8
	s_and_saveexec_b32 s5, s3
	s_cbranch_execz .LBB22_58
; %bb.57:                               ;   in Loop: Header=BB22_38 Depth=1
	s_waitcnt lgkmcnt(0)
	v_add_f32_e32 v8, v8, v9
	ds_store_b32 v10, v8
.LBB22_58:                              ;   in Loop: Header=BB22_38 Depth=1
	s_or_b32 exec_lo, exec_lo, s5
	v_mov_b32_e32 v8, 0
	s_waitcnt vmcnt(0) lgkmcnt(0)
	s_barrier
	buffer_gl0_inv
	s_and_saveexec_b32 s5, s4
	s_cbranch_execnz .LBB22_74
; %bb.59:                               ;   in Loop: Header=BB22_38 Depth=1
	s_or_b32 exec_lo, exec_lo, s5
	s_and_saveexec_b32 s5, s0
	s_cbranch_execnz .LBB22_75
.LBB22_60:                              ;   in Loop: Header=BB22_38 Depth=1
	s_or_b32 exec_lo, exec_lo, s5
	s_and_saveexec_b32 s5, s1
	s_cbranch_execz .LBB22_62
.LBB22_61:                              ;   in Loop: Header=BB22_38 Depth=1
	s_waitcnt lgkmcnt(0)
	ds_store_b32 v6, v8 offset:136
.LBB22_62:                              ;   in Loop: Header=BB22_38 Depth=1
	s_or_b32 exec_lo, exec_lo, s5
	s_waitcnt lgkmcnt(0)
	v_max_f32_e32 v8, v18, v18
	s_barrier
	buffer_gl0_inv
	ds_load_b32 v23, v6 offset:136
	v_max_f32_e32 v8, 0x2b8cbccc, v8
	s_waitcnt lgkmcnt(0)
	s_barrier
	buffer_gl0_inv
	v_rsq_f32_e32 v8, v8
	s_waitcnt_depctr 0xfff
	v_div_scale_f32 v9, null, v0, v0, v8
	v_div_scale_f32 v22, vcc_lo, v8, v0, v8
	s_delay_alu instid0(VALU_DEP_2) | instskip(SKIP_2) | instid1(VALU_DEP_1)
	v_rcp_f32_e32 v18, v9
	s_waitcnt_depctr 0xfff
	v_fma_f32 v21, -v9, v18, 1.0
	v_fmac_f32_e32 v18, v21, v18
	s_delay_alu instid0(VALU_DEP_1) | instskip(NEXT) | instid1(VALU_DEP_1)
	v_mul_f32_e32 v21, v22, v18
	v_fma_f32 v24, -v9, v21, v22
	s_delay_alu instid0(VALU_DEP_1) | instskip(NEXT) | instid1(VALU_DEP_1)
	v_fmac_f32_e32 v21, v24, v18
	v_fma_f32 v9, -v9, v21, v22
	s_delay_alu instid0(VALU_DEP_1) | instskip(SKIP_1) | instid1(VALU_DEP_2)
	v_div_fmas_f32 v9, v9, v18, v21
	v_sub_f32_e32 v18, v19, v23
	v_div_fixup_f32 v8, v9, v0, v8
	s_delay_alu instid0(VALU_DEP_1) | instskip(NEXT) | instid1(VALU_DEP_1)
	v_dual_mul_f32 v7, v7, v18 :: v_dual_mul_f32 v8, v17, v8
	v_fma_f32 v7, v20, v7, v5
	s_delay_alu instid0(VALU_DEP_1) | instskip(NEXT) | instid1(VALU_DEP_1)
	v_mul_f32_e32 v8, v8, v7
	v_cndmask_b32_e64 v8, 0, v8, s2
	ds_bpermute_b32 v9, v13, v8
	s_waitcnt lgkmcnt(0)
	v_add_f32_e32 v8, v8, v9
	ds_bpermute_b32 v9, v14, v8
	s_waitcnt lgkmcnt(0)
	v_add_f32_e32 v8, v8, v9
	;; [unrolled: 3-line block ×4, first 2 shown]
	ds_bpermute_b32 v9, v12, v8
	s_and_saveexec_b32 s5, s3
	s_cbranch_execz .LBB22_64
; %bb.63:                               ;   in Loop: Header=BB22_38 Depth=1
	s_waitcnt lgkmcnt(0)
	v_add_f32_e32 v8, v8, v9
	ds_store_b32 v10, v8
.LBB22_64:                              ;   in Loop: Header=BB22_38 Depth=1
	s_or_b32 exec_lo, exec_lo, s5
	v_mov_b32_e32 v8, 0
	s_waitcnt lgkmcnt(0)
	s_barrier
	buffer_gl0_inv
	s_and_saveexec_b32 s5, s4
	s_cbranch_execnz .LBB22_76
; %bb.65:                               ;   in Loop: Header=BB22_38 Depth=1
	s_or_b32 exec_lo, exec_lo, s5
	s_and_saveexec_b32 s5, s0
	s_cbranch_execnz .LBB22_77
.LBB22_66:                              ;   in Loop: Header=BB22_38 Depth=1
	s_or_b32 exec_lo, exec_lo, s5
	s_and_saveexec_b32 s5, s1
	s_cbranch_execz .LBB22_68
.LBB22_67:                              ;   in Loop: Header=BB22_38 Depth=1
	s_waitcnt lgkmcnt(0)
	ds_store_b32 v6, v8 offset:136
.LBB22_68:                              ;   in Loop: Header=BB22_38 Depth=1
	s_or_b32 exec_lo, exec_lo, s5
	s_waitcnt lgkmcnt(0)
	s_barrier
	buffer_gl0_inv
	ds_load_b32 v8, v6 offset:136
	s_waitcnt lgkmcnt(0)
	s_barrier
	buffer_gl0_inv
	s_and_saveexec_b32 s5, s1
	s_cbranch_execz .LBB22_37
; %bb.69:                               ;   in Loop: Header=BB22_38 Depth=1
	s_mov_b32 s13, s7
	s_delay_alu instid0(SALU_CYCLE_1) | instskip(NEXT) | instid1(SALU_CYCLE_1)
	s_lshl_b64 s[26:27], s[12:13], 2
	s_add_u32 s26, s20, s26
	s_addc_u32 s27, s21, s27
	global_store_b32 v6, v8, s[26:27]
	s_branch .LBB22_37
.LBB22_70:                              ;   in Loop: Header=BB22_38 Depth=1
	ds_load_b32 v7, v11
	s_or_b32 exec_lo, exec_lo, s5
	s_and_saveexec_b32 s5, s0
	s_cbranch_execz .LBB22_46
.LBB22_71:                              ;   in Loop: Header=BB22_38 Depth=1
	s_waitcnt lgkmcnt(0)
	ds_bpermute_b32 v8, v13, v7
	s_waitcnt lgkmcnt(0)
	v_add_f32_e32 v7, v7, v8
	ds_bpermute_b32 v8, v14, v7
	s_waitcnt lgkmcnt(0)
	v_add_f32_e32 v7, v7, v8
	;; [unrolled: 3-line block ×5, first 2 shown]
	s_or_b32 exec_lo, exec_lo, s5
	s_and_saveexec_b32 s5, s1
	s_cbranch_execnz .LBB22_47
	s_branch .LBB22_48
.LBB22_72:                              ;   in Loop: Header=BB22_38 Depth=1
	ds_load_b32 v7, v11
	s_or_b32 exec_lo, exec_lo, s5
	s_and_saveexec_b32 s5, s0
	s_cbranch_execz .LBB22_52
.LBB22_73:                              ;   in Loop: Header=BB22_38 Depth=1
	s_waitcnt lgkmcnt(0)
	ds_bpermute_b32 v8, v13, v7
	s_waitcnt lgkmcnt(0)
	v_add_f32_e32 v7, v7, v8
	ds_bpermute_b32 v8, v14, v7
	s_waitcnt lgkmcnt(0)
	v_add_f32_e32 v7, v7, v8
	;; [unrolled: 3-line block ×5, first 2 shown]
	s_or_b32 exec_lo, exec_lo, s5
	s_and_saveexec_b32 s5, s1
	s_cbranch_execnz .LBB22_53
	s_branch .LBB22_54
.LBB22_74:                              ;   in Loop: Header=BB22_38 Depth=1
	ds_load_b32 v8, v11
	s_or_b32 exec_lo, exec_lo, s5
	s_and_saveexec_b32 s5, s0
	s_cbranch_execz .LBB22_60
.LBB22_75:                              ;   in Loop: Header=BB22_38 Depth=1
	s_waitcnt lgkmcnt(0)
	ds_bpermute_b32 v9, v13, v8
	s_waitcnt lgkmcnt(0)
	v_add_f32_e32 v8, v8, v9
	ds_bpermute_b32 v9, v14, v8
	s_waitcnt lgkmcnt(0)
	v_add_f32_e32 v8, v8, v9
	;; [unrolled: 3-line block ×5, first 2 shown]
	s_or_b32 exec_lo, exec_lo, s5
	s_and_saveexec_b32 s5, s1
	s_cbranch_execnz .LBB22_61
	s_branch .LBB22_62
.LBB22_76:                              ;   in Loop: Header=BB22_38 Depth=1
	ds_load_b32 v8, v11
	s_or_b32 exec_lo, exec_lo, s5
	s_and_saveexec_b32 s5, s0
	s_cbranch_execz .LBB22_66
.LBB22_77:                              ;   in Loop: Header=BB22_38 Depth=1
	s_waitcnt lgkmcnt(0)
	ds_bpermute_b32 v9, v13, v8
	s_waitcnt lgkmcnt(0)
	v_add_f32_e32 v8, v8, v9
	ds_bpermute_b32 v9, v14, v8
	s_waitcnt lgkmcnt(0)
	v_add_f32_e32 v8, v8, v9
	;; [unrolled: 3-line block ×5, first 2 shown]
	s_or_b32 exec_lo, exec_lo, s5
	s_and_saveexec_b32 s5, s1
	s_cbranch_execnz .LBB22_67
	s_branch .LBB22_68
.LBB22_78:
	s_waitcnt vmcnt(0)
	global_store_b32 v[1:2], v9, off
.LBB22_79:
	s_nop 0
	s_sendmsg sendmsg(MSG_DEALLOC_VGPRS)
	s_endpgm
	.section	.rodata,"a",@progbits
	.p2align	6, 0x0
	.amdhsa_kernel ssm_delta_net
		.amdhsa_group_segment_fixed_size 140
		.amdhsa_private_segment_fixed_size 0
		.amdhsa_kernarg_size 368
		.amdhsa_user_sgpr_count 14
		.amdhsa_user_sgpr_dispatch_ptr 0
		.amdhsa_user_sgpr_queue_ptr 0
		.amdhsa_user_sgpr_kernarg_segment_ptr 1
		.amdhsa_user_sgpr_dispatch_id 0
		.amdhsa_user_sgpr_private_segment_size 0
		.amdhsa_wavefront_size32 1
		.amdhsa_uses_dynamic_stack 0
		.amdhsa_enable_private_segment 0
		.amdhsa_system_sgpr_workgroup_id_x 1
		.amdhsa_system_sgpr_workgroup_id_y 1
		.amdhsa_system_sgpr_workgroup_id_z 0
		.amdhsa_system_sgpr_workgroup_info 0
		.amdhsa_system_vgpr_workitem_id 0
		.amdhsa_next_free_vgpr 27
		.amdhsa_next_free_sgpr 40
		.amdhsa_reserve_vcc 1
		.amdhsa_float_round_mode_32 0
		.amdhsa_float_round_mode_16_64 0
		.amdhsa_float_denorm_mode_32 3
		.amdhsa_float_denorm_mode_16_64 3
		.amdhsa_dx10_clamp 1
		.amdhsa_ieee_mode 1
		.amdhsa_fp16_overflow 0
		.amdhsa_workgroup_processor_mode 1
		.amdhsa_memory_ordered 1
		.amdhsa_forward_progress 0
		.amdhsa_shared_vgpr_count 0
		.amdhsa_exception_fp_ieee_invalid_op 0
		.amdhsa_exception_fp_denorm_src 0
		.amdhsa_exception_fp_ieee_div_zero 0
		.amdhsa_exception_fp_ieee_overflow 0
		.amdhsa_exception_fp_ieee_underflow 0
		.amdhsa_exception_fp_ieee_inexact 0
		.amdhsa_exception_int_div_zero 0
	.end_amdhsa_kernel
	.text
.Lfunc_end22:
	.size	ssm_delta_net, .Lfunc_end22-ssm_delta_net
                                        ; -- End function
	.section	.AMDGPU.csdata,"",@progbits
; Kernel info:
; codeLenInByte = 3796
; NumSgprs: 42
; NumVgprs: 27
; ScratchSize: 0
; MemoryBound: 0
; FloatMode: 240
; IeeeMode: 1
; LDSByteSize: 140 bytes/workgroup (compile time only)
; SGPRBlocks: 5
; VGPRBlocks: 3
; NumSGPRsForWavesPerEU: 42
; NumVGPRsForWavesPerEU: 27
; Occupancy: 16
; WaveLimiterHint : 1
; COMPUTE_PGM_RSRC2:SCRATCH_EN: 0
; COMPUTE_PGM_RSRC2:USER_SGPR: 14
; COMPUTE_PGM_RSRC2:TRAP_HANDLER: 0
; COMPUTE_PGM_RSRC2:TGID_X_EN: 1
; COMPUTE_PGM_RSRC2:TGID_Y_EN: 1
; COMPUTE_PGM_RSRC2:TGID_Z_EN: 0
; COMPUTE_PGM_RSRC2:TIDIG_COMP_CNT: 0
	.text
	.protected	dmmv_q4k_fast           ; -- Begin function dmmv_q4k_fast
	.globl	dmmv_q4k_fast
	.p2align	8
	.type	dmmv_q4k_fast,@function
dmmv_q4k_fast:                          ; @dmmv_q4k_fast
; %bb.0:
	s_load_b32 s2, s[0:1], 0x18
	s_add_u32 s10, s0, 24
	s_addc_u32 s11, s1, 0
	s_waitcnt lgkmcnt(0)
	s_cmp_ge_u32 s15, s2
	s_cbranch_scc1 .LBB23_37
; %bb.1:
	s_clause 0x4
	s_load_b128 s[4:7], s[0:1], 0x1c
	s_load_b64 s[8:9], s[0:1], 0x10
	s_load_b32 s12, s[0:1], 0x3c
	s_load_b128 s[0:3], s[0:1], 0x0
	s_load_b64 s[10:11], s[10:11], 0x10
	v_lshrrev_b32_e32 v1, 4, v0
	v_mov_b32_e32 v5, 0
	s_waitcnt lgkmcnt(0)
	s_lshr_b32 s7, s4, 8
	s_and_b32 s4, s12, 0xffff
	s_mov_b32 s12, exec_lo
	v_cmpx_gt_u32_e64 s7, v1
	s_cbranch_execz .LBB23_27
; %bb.2:
	v_bfe_u32 v2, v0, 3, 1
	v_lshlrev_b32_e32 v3, 3, v0
	v_and_b32_e32 v7, 4, v0
	s_and_b32 s13, s6, -4
	s_lshr_b32 s6, s5, 2
	v_lshlrev_b32_e32 v6, 6, v2
	v_mad_u64_u32 v[4:5], null, s7, s15, v[1:2]
	v_and_b32_e32 v3, 24, v3
	v_lshlrev_b32_e32 v8, 5, v2
	s_delay_alu instid0(VALU_DEP_4)
	v_lshl_or_b32 v5, v1, 8, v6
	v_lshlrev_b32_e32 v6, 4, v2
	s_add_u32 s2, s2, s13
	s_addc_u32 s3, s3, 0
	v_or3_b32 v8, v8, v3, v7
	v_or3_b32 v7, v5, v3, v7
	v_mov_b32_e32 v5, 0
	v_mad_u64_u32 v[2:3], null, v4, 36, s[6:7]
	s_delay_alu instid0(VALU_DEP_4)
	v_lshrrev_b32_e32 v8, 2, v8
	v_mov_b32_e32 v4, 0
	s_lshr_b32 s5, s4, 4
	s_mov_b32 s6, 0
	s_lshl_b32 s13, s5, 8
	s_mul_i32 s14, s5, 36
	s_branch .LBB23_6
.LBB23_3:                               ;   in Loop: Header=BB23_6 Depth=1
	s_or_b32 exec_lo, exec_lo, s18
.LBB23_4:                               ;   in Loop: Header=BB23_6 Depth=1
	s_delay_alu instid0(SALU_CYCLE_1)
	s_or_b32 exec_lo, exec_lo, s17
.LBB23_5:                               ;   in Loop: Header=BB23_6 Depth=1
	s_delay_alu instid0(SALU_CYCLE_1) | instskip(SKIP_2) | instid1(VALU_DEP_2)
	s_or_b32 exec_lo, exec_lo, s16
	v_add_nc_u32_e32 v3, 1, v2
	v_add_nc_u32_e32 v1, s5, v1
	v_lshlrev_b64 v[11:12], 2, v[3:4]
	v_add_nc_u32_e32 v3, 2, v2
	s_delay_alu instid0(VALU_DEP_1) | instskip(SKIP_1) | instid1(VALU_DEP_4)
	v_lshlrev_b64 v[13:14], 2, v[3:4]
	v_add_nc_u32_e32 v3, 3, v2
	v_add_co_u32 v11, vcc_lo, s0, v11
	v_add_co_ci_u32_e32 v12, vcc_lo, s1, v12, vcc_lo
	s_delay_alu instid0(VALU_DEP_4) | instskip(NEXT) | instid1(VALU_DEP_4)
	v_add_co_u32 v13, vcc_lo, s0, v13
	v_lshlrev_b64 v[15:16], 2, v[3:4]
	v_add_co_ci_u32_e32 v14, vcc_lo, s1, v14, vcc_lo
	s_clause 0x1
	global_load_b32 v27, v[11:12], off
	global_load_b32 v28, v[13:14], off
	v_add_co_u32 v11, vcc_lo, s0, v15
	v_add_co_ci_u32_e32 v12, vcc_lo, s1, v16, vcc_lo
	global_load_b32 v29, v[11:12], off
	s_waitcnt vmcnt(1)
	v_lshrrev_b32_e32 v32, v6, v28
	v_bfe_u32 v28, v28, v6, 6
	s_delay_alu instid0(VALU_DEP_2)
	v_bfe_u32 v35, v32, 8, 6
	v_lshrrev_b32_e32 v36, 2, v32
	v_lshrrev_b32_e32 v32, 10, v32
	s_waitcnt vmcnt(0)
	v_lshrrev_b32_e32 v29, v6, v29
	v_cvt_f32_ubyte0_e32 v28, v28
	v_cvt_f32_ubyte0_e32 v35, v35
	v_and_b32_e32 v36, 48, v36
	v_and_b32_e32 v32, 48, v32
	v_lshrrev_b32_e32 v37, 4, v29
	v_lshrrev_b32_e32 v38, 8, v29
	v_mul_f32_e32 v35, v10, v35
	v_mul_f32_e32 v28, v10, v28
	s_delay_alu instid0(VALU_DEP_4) | instskip(NEXT) | instid1(VALU_DEP_1)
	v_and_or_b32 v36, v37, 15, v36
	v_cvt_f32_ubyte0_e32 v36, v36
	v_add_nc_u32_e32 v17, v8, v2
	v_add_nc_u32_e32 v2, s14, v2
	s_delay_alu instid0(VALU_DEP_2) | instskip(NEXT) | instid1(VALU_DEP_1)
	v_dual_mul_f32 v36, v10, v36 :: v_dual_add_nc_u32 v3, 4, v17
	v_lshlrev_b64 v[11:12], 2, v[3:4]
	v_add_nc_u32_e32 v3, 20, v17
	s_delay_alu instid0(VALU_DEP_2) | instskip(NEXT) | instid1(VALU_DEP_3)
	v_add_co_u32 v11, vcc_lo, s0, v11
	v_add_co_ci_u32_e32 v12, vcc_lo, s1, v12, vcc_lo
	global_load_b32 v30, v[11:12], off
	v_lshlrev_b64 v[11:12], 2, v[3:4]
	v_lshrrev_b32_e32 v3, 2, v7
	v_add_nc_u32_e32 v7, s13, v7
	s_delay_alu instid0(VALU_DEP_3) | instskip(NEXT) | instid1(VALU_DEP_4)
	v_add_co_u32 v11, vcc_lo, s0, v11
	v_add_co_ci_u32_e32 v12, vcc_lo, s1, v12, vcc_lo
	global_load_b32 v31, v[11:12], off
	v_lshlrev_b64 v[11:12], 4, v[3:4]
	v_bfe_u32 v3, v27, v6, 6
	v_lshrrev_b32_e32 v27, v6, v27
	s_delay_alu instid0(VALU_DEP_3) | instskip(NEXT) | instid1(VALU_DEP_4)
	v_add_co_u32 v23, vcc_lo, s2, v11
	v_add_co_ci_u32_e32 v24, vcc_lo, s3, v12, vcc_lo
	s_clause 0x3
	global_load_b128 v[11:14], v[23:24], off
	global_load_b128 v[15:18], v[23:24], off offset:128
	global_load_b128 v[19:22], v[23:24], off offset:512
	;; [unrolled: 1-line block ×3, first 2 shown]
	v_cvt_f32_ubyte0_e32 v3, v3
	v_bfe_u32 v33, v27, 8, 6
	v_lshrrev_b32_e32 v34, 2, v27
	v_lshrrev_b32_e32 v27, 10, v27
	v_cmp_le_u32_e32 vcc_lo, s7, v1
	v_mul_f32_e32 v3, v9, v3
	v_cvt_f32_ubyte0_e32 v33, v33
	v_and_b32_e32 v34, 48, v34
	s_or_b32 s6, vcc_lo, s6
	s_delay_alu instid0(VALU_DEP_2) | instskip(NEXT) | instid1(VALU_DEP_2)
	v_mul_f32_e32 v33, v9, v33
	v_and_or_b32 v34, v29, 15, v34
	v_lshrrev_b32_e32 v29, 12, v29
	s_delay_alu instid0(VALU_DEP_2) | instskip(NEXT) | instid1(VALU_DEP_2)
	v_cvt_f32_ubyte0_e32 v34, v34
	v_and_or_b32 v29, v29, 15, v32
	s_delay_alu instid0(VALU_DEP_2) | instskip(NEXT) | instid1(VALU_DEP_2)
	v_mul_f32_e32 v34, v9, v34
	v_cvt_f32_ubyte0_e32 v29, v29
	s_delay_alu instid0(VALU_DEP_1) | instskip(NEXT) | instid1(VALU_DEP_1)
	v_dual_mul_f32 v10, v10, v29 :: v_dual_and_b32 v27, 48, v27
	v_and_or_b32 v27, v38, 15, v27
	s_delay_alu instid0(VALU_DEP_1)
	v_cvt_f32_ubyte0_e32 v27, v27
	s_waitcnt vmcnt(5)
	v_bfe_u32 v40, v30, 8, 4
	v_and_b32_e32 v39, 15, v30
	v_bfe_u32 v41, v30, 16, 4
	v_bfe_u32 v42, v30, 24, 4
	;; [unrolled: 1-line block ×3, first 2 shown]
	v_cvt_f32_ubyte0_e32 v37, v40
	v_bfe_u32 v43, v30, 4, 4
	v_bfe_u32 v45, v30, 20, 4
	v_lshrrev_b32_e32 v30, 28, v30
	v_cvt_f32_ubyte0_e32 v32, v39
	v_cvt_f32_ubyte0_e32 v38, v41
	;; [unrolled: 1-line block ×4, first 2 shown]
	v_fma_f32 v37, v3, v37, -v28
	v_cvt_f32_ubyte0_e32 v40, v43
	v_cvt_f32_ubyte0_e32 v42, v45
	;; [unrolled: 1-line block ×3, first 2 shown]
	s_waitcnt vmcnt(4)
	v_bfe_u32 v44, v31, 8, 4
	v_fma_f32 v32, v3, v32, -v28
	v_fma_f32 v38, v3, v38, -v28
	;; [unrolled: 1-line block ×4, first 2 shown]
	v_bfe_u32 v48, v31, 12, 4
	v_fma_f32 v28, v33, v40, -v35
	v_fma_f32 v40, v33, v42, -v35
	s_waitcnt vmcnt(3)
	v_mul_f32_e32 v12, v12, v37
	v_fma_f32 v30, v33, v30, -v35
	v_cvt_f32_ubyte0_e32 v35, v44
	s_waitcnt vmcnt(2)
	v_mul_f32_e32 v16, v39, v16
	v_bfe_u32 v45, v31, 16, 4
	v_dual_fmac_f32 v12, v11, v32 :: v_dual_and_b32 v43, 15, v31
	v_bfe_u32 v47, v31, 4, 4
	v_cvt_f32_ubyte0_e32 v44, v48
	v_fmac_f32_e32 v16, v28, v15
	s_delay_alu instid0(VALU_DEP_4)
	v_fmac_f32_e32 v12, v13, v38
	v_cvt_f32_ubyte0_e32 v33, v43
	v_mul_f32_e32 v9, v9, v27
	v_fma_f32 v15, v34, v35, -v36
	v_fmac_f32_e32 v16, v40, v17
	v_bfe_u32 v46, v31, 24, 4
	v_bfe_u32 v49, v31, 20, 4
	v_cvt_f32_ubyte0_e32 v41, v45
	v_cvt_f32_ubyte0_e32 v43, v47
	v_fma_f32 v11, v34, v33, -v36
	v_fma_f32 v29, v9, v44, -v10
	s_waitcnt vmcnt(1)
	v_dual_mul_f32 v13, v15, v20 :: v_dual_fmac_f32 v16, v30, v18
	v_lshrrev_b32_e32 v31, 28, v31
	v_cvt_f32_ubyte0_e32 v42, v46
	v_cvt_f32_ubyte0_e32 v45, v49
	v_fma_f32 v27, v34, v41, -v36
	v_fma_f32 v15, v9, v43, -v10
	s_waitcnt vmcnt(0)
	v_dual_mul_f32 v17, v29, v24 :: v_dual_fmac_f32 v12, v3, v14
	v_fmac_f32_e32 v13, v11, v19
	v_cvt_f32_ubyte0_e32 v31, v31
	v_fma_f32 v28, v34, v42, -v36
	v_fma_f32 v3, v9, v45, -v10
	v_fmac_f32_e32 v17, v15, v23
	v_add_f32_e32 v5, v5, v12
	v_fmac_f32_e32 v13, v27, v21
	v_fma_f32 v9, v9, v31, -v10
	s_delay_alu instid0(VALU_DEP_4) | instskip(NEXT) | instid1(VALU_DEP_4)
	v_fmac_f32_e32 v17, v3, v25
	v_add_f32_e32 v3, v5, v16
	s_delay_alu instid0(VALU_DEP_4) | instskip(NEXT) | instid1(VALU_DEP_3)
	v_fmac_f32_e32 v13, v28, v22
	v_fmac_f32_e32 v17, v9, v26
	s_delay_alu instid0(VALU_DEP_2) | instskip(NEXT) | instid1(VALU_DEP_1)
	v_add_f32_e32 v3, v3, v13
	v_add_f32_e32 v5, v3, v17
	s_and_not1_b32 exec_lo, exec_lo, s6
	s_cbranch_execz .LBB23_26
.LBB23_6:                               ; =>This Inner Loop Header: Depth=1
	v_mov_b32_e32 v3, v4
	s_mov_b32 s16, exec_lo
	s_delay_alu instid0(VALU_DEP_1) | instskip(NEXT) | instid1(VALU_DEP_1)
	v_lshlrev_b64 v[9:10], 2, v[2:3]
	v_add_co_u32 v9, vcc_lo, s0, v9
	s_delay_alu instid0(VALU_DEP_2) | instskip(SKIP_4) | instid1(VALU_DEP_2)
	v_add_co_ci_u32_e32 v10, vcc_lo, s1, v10, vcc_lo
	global_load_b32 v3, v[9:10], off
	s_waitcnt vmcnt(0)
	v_bfe_u32 v10, v3, 15, 1
	v_bfe_u32 v11, v3, 10, 5
	v_lshlrev_b32_e32 v9, 31, v10
	s_delay_alu instid0(VALU_DEP_2)
	v_cmpx_lt_i32_e32 30, v11
	s_xor_b32 s16, exec_lo, s16
; %bb.7:                                ;   in Loop: Header=BB23_6 Depth=1
	v_and_b32_e32 v9, 0xffff, v3
	v_lshlrev_b32_e32 v10, 31, v10
                                        ; implicit-def: $vgpr11
	s_delay_alu instid0(VALU_DEP_2) | instskip(NEXT) | instid1(VALU_DEP_1)
	v_lshlrev_b32_e32 v9, 13, v9
	v_or3_b32 v9, v10, v9, 0x7f800000
                                        ; implicit-def: $vgpr10
; %bb.8:                                ;   in Loop: Header=BB23_6 Depth=1
	s_and_not1_saveexec_b32 s16, s16
	s_cbranch_execz .LBB23_16
; %bb.9:                                ;   in Loop: Header=BB23_6 Depth=1
	v_and_b32_e32 v12, 0x3ff, v3
	s_mov_b32 s17, exec_lo
	v_cmpx_ne_u32_e32 0, v11
	s_xor_b32 s17, exec_lo, s17
; %bb.10:                               ;   in Loop: Header=BB23_6 Depth=1
	v_lshlrev_b32_e32 v9, 31, v10
	v_lshlrev_b32_e32 v10, 23, v11
	;; [unrolled: 1-line block ×3, first 2 shown]
                                        ; implicit-def: $vgpr12
	s_delay_alu instid0(VALU_DEP_1) | instskip(NEXT) | instid1(VALU_DEP_1)
	v_or3_b32 v9, v10, v9, v11
                                        ; implicit-def: $vgpr10
	v_add_nc_u32_e32 v9, 0x38000000, v9
; %bb.11:                               ;   in Loop: Header=BB23_6 Depth=1
	s_and_not1_saveexec_b32 s17, s17
	s_cbranch_execz .LBB23_15
; %bb.12:                               ;   in Loop: Header=BB23_6 Depth=1
	s_mov_b32 s18, exec_lo
	v_cmpx_ne_u32_e32 0, v12
	s_xor_b32 s18, exec_lo, s18
; %bb.13:                               ;   in Loop: Header=BB23_6 Depth=1
	v_clz_i32_u32_e32 v9, v12
	v_lshlrev_b32_e32 v10, 31, v10
	s_delay_alu instid0(VALU_DEP_2) | instskip(SKIP_1) | instid1(VALU_DEP_2)
	v_xor_b32_e32 v11, 31, v9
	v_lshlrev_b32_e32 v9, 23, v9
	v_sub_nc_u32_e32 v11, 9, v11
	s_delay_alu instid0(VALU_DEP_1) | instskip(NEXT) | instid1(VALU_DEP_1)
	v_lshlrev_b32_e32 v11, v11, v3
	v_lshlrev_b32_e32 v11, 14, v11
	s_delay_alu instid0(VALU_DEP_1) | instskip(NEXT) | instid1(VALU_DEP_1)
	v_and_or_b32 v10, 0x7fc000, v11, v10
	v_sub_nc_u32_e32 v9, v10, v9
	s_delay_alu instid0(VALU_DEP_1)
	v_add_nc_u32_e32 v9, 0x43000000, v9
; %bb.14:                               ;   in Loop: Header=BB23_6 Depth=1
	s_and_not1_saveexec_b32 s18, s18
	s_delay_alu instid0(SALU_CYCLE_1)
	s_or_b32 exec_lo, exec_lo, s18
.LBB23_15:                              ;   in Loop: Header=BB23_6 Depth=1
	s_delay_alu instid0(SALU_CYCLE_1)
	s_or_b32 exec_lo, exec_lo, s17
.LBB23_16:                              ;   in Loop: Header=BB23_6 Depth=1
	s_delay_alu instid0(SALU_CYCLE_1) | instskip(SKIP_3) | instid1(VALU_DEP_2)
	s_or_b32 exec_lo, exec_lo, s16
	v_bfe_u32 v12, v3, 26, 5
	v_lshrrev_b32_e32 v11, 16, v3
	s_mov_b32 s16, exec_lo
                                        ; implicit-def: $vgpr10
	v_cmpx_lt_i32_e32 30, v12
	s_xor_b32 s16, exec_lo, s16
; %bb.17:                               ;   in Loop: Header=BB23_6 Depth=1
	v_and_b32_e32 v3, 0x80000000, v3
	v_lshlrev_b32_e32 v10, 13, v11
                                        ; implicit-def: $vgpr11
                                        ; implicit-def: $vgpr12
	s_delay_alu instid0(VALU_DEP_1)
	v_or3_b32 v10, v10, v3, 0x7f800000
                                        ; implicit-def: $vgpr3
; %bb.18:                               ;   in Loop: Header=BB23_6 Depth=1
	s_and_not1_saveexec_b32 s16, s16
	s_cbranch_execz .LBB23_5
; %bb.19:                               ;   in Loop: Header=BB23_6 Depth=1
	v_and_b32_e32 v13, 0x3ff, v11
	s_mov_b32 s17, exec_lo
                                        ; implicit-def: $vgpr10
	v_cmpx_ne_u32_e32 0, v12
	s_xor_b32 s17, exec_lo, s17
; %bb.20:                               ;   in Loop: Header=BB23_6 Depth=1
	v_and_b32_e32 v3, 0x80000000, v3
	v_lshlrev_b32_e32 v10, 23, v12
	v_lshlrev_b32_e32 v11, 13, v13
                                        ; implicit-def: $vgpr13
	s_delay_alu instid0(VALU_DEP_1) | instskip(NEXT) | instid1(VALU_DEP_1)
	v_or3_b32 v3, v10, v3, v11
                                        ; implicit-def: $vgpr11
	v_add_nc_u32_e32 v10, 0x38000000, v3
                                        ; implicit-def: $vgpr3
; %bb.21:                               ;   in Loop: Header=BB23_6 Depth=1
	s_and_not1_saveexec_b32 s17, s17
	s_cbranch_execz .LBB23_4
; %bb.22:                               ;   in Loop: Header=BB23_6 Depth=1
	s_mov_b32 s18, exec_lo
                                        ; implicit-def: $vgpr10
	v_cmpx_ne_u32_e32 0, v13
	s_xor_b32 s18, exec_lo, s18
; %bb.23:                               ;   in Loop: Header=BB23_6 Depth=1
	v_clz_i32_u32_e32 v10, v13
	s_delay_alu instid0(VALU_DEP_1) | instskip(SKIP_1) | instid1(VALU_DEP_2)
	v_xor_b32_e32 v12, 31, v10
	v_lshlrev_b32_e32 v10, 23, v10
	v_sub_nc_u32_e32 v12, 9, v12
	s_delay_alu instid0(VALU_DEP_1) | instskip(NEXT) | instid1(VALU_DEP_1)
	v_lshlrev_b32_e32 v11, v12, v11
	v_lshlrev_b32_e32 v11, 14, v11
	s_delay_alu instid0(VALU_DEP_1) | instskip(NEXT) | instid1(VALU_DEP_1)
	v_and_b32_e32 v11, 0x7fc000, v11
	v_and_or_b32 v3, 0x80000000, v3, v11
	s_delay_alu instid0(VALU_DEP_1) | instskip(NEXT) | instid1(VALU_DEP_1)
	v_sub_nc_u32_e32 v3, v3, v10
	v_add_nc_u32_e32 v10, 0x43000000, v3
                                        ; implicit-def: $vgpr3
; %bb.24:                               ;   in Loop: Header=BB23_6 Depth=1
	s_and_not1_saveexec_b32 s18, s18
	s_cbranch_execz .LBB23_3
; %bb.25:                               ;   in Loop: Header=BB23_6 Depth=1
	v_and_b32_e32 v10, 0x80000000, v3
	s_branch .LBB23_3
.LBB23_26:
	s_or_b32 exec_lo, exec_lo, s6
.LBB23_27:
	s_delay_alu instid0(SALU_CYCLE_1) | instskip(SKIP_2) | instid1(VALU_DEP_1)
	s_or_b32 exec_lo, exec_lo, s12
	v_mbcnt_lo_u32_b32 v4, -1, 0
	s_mov_b32 s0, exec_lo
	v_cmp_gt_u32_e32 vcc_lo, 16, v4
	v_cndmask_b32_e64 v1, 0, 1, vcc_lo
	v_cmp_gt_u32_e32 vcc_lo, 24, v4
	s_delay_alu instid0(VALU_DEP_2) | instskip(SKIP_2) | instid1(VALU_DEP_3)
	v_lshlrev_b32_e32 v1, 4, v1
	v_cndmask_b32_e64 v2, 0, 1, vcc_lo
	v_cmp_gt_u32_e32 vcc_lo, 28, v4
	v_add_lshl_u32 v1, v1, v4, 2
	ds_bpermute_b32 v3, v1, v5
	s_waitcnt lgkmcnt(0)
	v_dual_add_f32 v5, v5, v3 :: v_dual_lshlrev_b32 v2, 3, v2
	s_delay_alu instid0(VALU_DEP_1) | instskip(SKIP_4) | instid1(VALU_DEP_1)
	v_add_lshl_u32 v2, v2, v4, 2
	v_cndmask_b32_e64 v3, 0, 1, vcc_lo
	v_cmp_gt_u32_e32 vcc_lo, 30, v4
	ds_bpermute_b32 v6, v2, v5
	v_lshlrev_b32_e32 v3, 2, v3
	v_add_lshl_u32 v3, v3, v4, 2
	s_waitcnt lgkmcnt(0)
	v_add_f32_e32 v6, v5, v6
	v_cndmask_b32_e64 v5, 0, 1, vcc_lo
	v_cmp_ne_u32_e32 vcc_lo, 31, v4
	ds_bpermute_b32 v7, v3, v6
	v_lshlrev_b32_e32 v5, 1, v5
	v_add_co_ci_u32_e32 v8, vcc_lo, 0, v4, vcc_lo
	s_waitcnt lgkmcnt(0)
	v_add_f32_e32 v6, v6, v7
	s_delay_alu instid0(VALU_DEP_3)
	v_add_lshl_u32 v5, v5, v4, 2
	ds_bpermute_b32 v7, v5, v6
	s_waitcnt lgkmcnt(0)
	v_dual_add_f32 v4, v6, v7 :: v_dual_and_b32 v7, 31, v0
	v_lshlrev_b32_e32 v6, 2, v8
	ds_bpermute_b32 v8, v6, v4
	v_cmpx_eq_u32_e32 0, v7
	s_cbranch_execz .LBB23_29
; %bb.28:
	s_waitcnt lgkmcnt(0)
	v_add_f32_e32 v4, v4, v8
	v_lshrrev_b32_e32 v8, 3, v0
	ds_store_b32 v8, v4
.LBB23_29:
	s_or_b32 exec_lo, exec_lo, s0
	s_add_i32 s4, s4, 31
	v_mov_b32_e32 v4, 0
	s_lshr_b32 s0, s4, 5
	s_waitcnt lgkmcnt(0)
	v_cmp_gt_u32_e32 vcc_lo, s0, v0
	s_barrier
	buffer_gl0_inv
	s_and_saveexec_b32 s0, vcc_lo
	s_cbranch_execz .LBB23_31
; %bb.30:
	v_lshlrev_b32_e32 v4, 2, v7
	ds_load_b32 v4, v4
.LBB23_31:
	s_or_b32 exec_lo, exec_lo, s0
	s_delay_alu instid0(SALU_CYCLE_1)
	s_mov_b32 s0, exec_lo
	v_cmpx_gt_u32_e32 32, v0
	s_cbranch_execz .LBB23_33
; %bb.32:
	s_waitcnt lgkmcnt(0)
	ds_bpermute_b32 v1, v1, v4
	s_waitcnt lgkmcnt(0)
	v_add_f32_e32 v1, v4, v1
	ds_bpermute_b32 v2, v2, v1
	s_waitcnt lgkmcnt(0)
	v_add_f32_e32 v1, v1, v2
	;; [unrolled: 3-line block ×5, first 2 shown]
.LBB23_33:
	s_or_b32 exec_lo, exec_lo, s0
	s_mov_b32 s1, 0
	s_mov_b32 s0, exec_lo
	v_cmpx_eq_u32_e32 0, v0
	s_cbranch_execz .LBB23_37
; %bb.34:
	s_lshr_b32 s0, s10, 2
	s_delay_alu instid0(SALU_CYCLE_1) | instskip(NEXT) | instid1(SALU_CYCLE_1)
	s_add_i32 s0, s0, s15
	s_lshl_b64 s[0:1], s[0:1], 2
	s_delay_alu instid0(SALU_CYCLE_1)
	s_add_u32 s0, s8, s0
	s_addc_u32 s1, s9, s1
	s_cmp_eq_u32 s11, 0
	s_cbranch_scc1 .LBB23_36
; %bb.35:
	s_load_b32 s2, s[0:1], 0x0
	s_waitcnt lgkmcnt(0)
	v_add_f32_e32 v4, s2, v4
.LBB23_36:
	v_mov_b32_e32 v0, 0
	s_waitcnt lgkmcnt(0)
	global_store_b32 v0, v4, s[0:1]
.LBB23_37:
	s_nop 0
	s_sendmsg sendmsg(MSG_DEALLOC_VGPRS)
	s_endpgm
	.section	.rodata,"a",@progbits
	.p2align	6, 0x0
	.amdhsa_kernel dmmv_q4k_fast
		.amdhsa_group_segment_fixed_size 128
		.amdhsa_private_segment_fixed_size 0
		.amdhsa_kernarg_size 304
		.amdhsa_user_sgpr_count 15
		.amdhsa_user_sgpr_dispatch_ptr 0
		.amdhsa_user_sgpr_queue_ptr 0
		.amdhsa_user_sgpr_kernarg_segment_ptr 1
		.amdhsa_user_sgpr_dispatch_id 0
		.amdhsa_user_sgpr_private_segment_size 0
		.amdhsa_wavefront_size32 1
		.amdhsa_uses_dynamic_stack 0
		.amdhsa_enable_private_segment 0
		.amdhsa_system_sgpr_workgroup_id_x 1
		.amdhsa_system_sgpr_workgroup_id_y 0
		.amdhsa_system_sgpr_workgroup_id_z 0
		.amdhsa_system_sgpr_workgroup_info 0
		.amdhsa_system_vgpr_workitem_id 0
		.amdhsa_next_free_vgpr 50
		.amdhsa_next_free_sgpr 19
		.amdhsa_reserve_vcc 1
		.amdhsa_float_round_mode_32 0
		.amdhsa_float_round_mode_16_64 0
		.amdhsa_float_denorm_mode_32 3
		.amdhsa_float_denorm_mode_16_64 3
		.amdhsa_dx10_clamp 1
		.amdhsa_ieee_mode 1
		.amdhsa_fp16_overflow 0
		.amdhsa_workgroup_processor_mode 1
		.amdhsa_memory_ordered 1
		.amdhsa_forward_progress 0
		.amdhsa_shared_vgpr_count 0
		.amdhsa_exception_fp_ieee_invalid_op 0
		.amdhsa_exception_fp_denorm_src 0
		.amdhsa_exception_fp_ieee_div_zero 0
		.amdhsa_exception_fp_ieee_overflow 0
		.amdhsa_exception_fp_ieee_underflow 0
		.amdhsa_exception_fp_ieee_inexact 0
		.amdhsa_exception_int_div_zero 0
	.end_amdhsa_kernel
	.text
.Lfunc_end23:
	.size	dmmv_q4k_fast, .Lfunc_end23-dmmv_q4k_fast
                                        ; -- End function
	.section	.AMDGPU.csdata,"",@progbits
; Kernel info:
; codeLenInByte = 2208
; NumSgprs: 21
; NumVgprs: 50
; ScratchSize: 0
; MemoryBound: 0
; FloatMode: 240
; IeeeMode: 1
; LDSByteSize: 128 bytes/workgroup (compile time only)
; SGPRBlocks: 2
; VGPRBlocks: 6
; NumSGPRsForWavesPerEU: 21
; NumVGPRsForWavesPerEU: 50
; Occupancy: 16
; WaveLimiterHint : 1
; COMPUTE_PGM_RSRC2:SCRATCH_EN: 0
; COMPUTE_PGM_RSRC2:USER_SGPR: 15
; COMPUTE_PGM_RSRC2:TRAP_HANDLER: 0
; COMPUTE_PGM_RSRC2:TGID_X_EN: 1
; COMPUTE_PGM_RSRC2:TGID_Y_EN: 0
; COMPUTE_PGM_RSRC2:TGID_Z_EN: 0
; COMPUTE_PGM_RSRC2:TIDIG_COMP_CNT: 0
	.text
	.protected	dmmv_q6k_fast           ; -- Begin function dmmv_q6k_fast
	.globl	dmmv_q6k_fast
	.p2align	8
	.type	dmmv_q6k_fast,@function
dmmv_q6k_fast:                          ; @dmmv_q6k_fast
; %bb.0:
	s_load_b32 s2, s[0:1], 0x18
	s_add_u32 s10, s0, 24
	s_addc_u32 s11, s1, 0
	s_waitcnt lgkmcnt(0)
	s_cmp_ge_u32 s15, s2
	s_cbranch_scc1 .LBB24_25
; %bb.1:
	s_clause 0x4
	s_load_b128 s[4:7], s[0:1], 0x1c
	s_load_b64 s[8:9], s[0:1], 0x10
	s_load_b32 s12, s[0:1], 0x3c
	s_load_b128 s[0:3], s[0:1], 0x0
	s_load_b64 s[10:11], s[10:11], 0x10
	v_lshrrev_b32_e32 v5, 4, v0
	v_mov_b32_e32 v7, 0
	s_waitcnt lgkmcnt(0)
	s_lshr_b32 s7, s4, 8
	s_and_b32 s4, s12, 0xffff
	s_mov_b32 s12, exec_lo
	v_cmpx_gt_u32_e64 s7, v5
	s_cbranch_execz .LBB24_15
; %bb.2:
	s_mul_hi_u32 s13, s15, s7
	s_mul_i32 s14, s15, s7
	s_mulk_i32 s13, 0xd2
	s_mul_hi_u32 s16, s14, 0xd2
	v_dual_mov_b32 v2, 0 :: v_dual_lshlrev_b32 v1, 2, v0
	s_and_b32 s6, s6, -4
	s_add_i32 s16, s16, s13
	s_add_u32 s2, s2, s6
	s_addc_u32 s3, s3, 0
	s_lshr_b32 s6, s4, 4
	s_mulk_i32 s14, 0xd2
	v_bfe_u32 v7, v0, 3, 1
	v_and_b32_e32 v9, 28, v1
	s_add_u32 s0, s0, s5
	s_addc_u32 s1, s1, 0
	s_add_u32 s0, s0, s14
	s_addc_u32 s1, s1, s16
	v_bfe_u32 v1, v1, 4, 1
	v_mad_u64_u32 v[3:4], null, 0xd2, v5, s[0:1]
	v_lshl_or_b32 v8, v7, 7, v9
	s_mov_b32 s1, 0
	s_delay_alu instid0(VALU_DEP_3) | instskip(SKIP_3) | instid1(VALU_DEP_4)
	v_lshl_or_b32 v6, v7, 3, v1
	s_mul_i32 s5, s6, 0xd2
	s_lshl_b32 s13, s6, 6
	v_lshrrev_b32_e32 v1, 2, v8
	v_add_co_u32 v3, vcc_lo, 0xd1, v3
	v_add_co_ci_u32_e32 v4, vcc_lo, 0, v4, vcc_lo
	v_lshl_or_b32 v8, v7, 5, v9
	s_delay_alu instid0(VALU_DEP_4)
	v_lshl_or_b32 v1, v5, 6, v1
	v_lshl_or_b32 v9, v7, 6, v9
	v_mov_b32_e32 v7, v2
	s_branch .LBB24_6
.LBB24_3:                               ;   in Loop: Header=BB24_6 Depth=1
	s_and_not1_saveexec_b32 s16, s16
	s_delay_alu instid0(SALU_CYCLE_1)
	s_or_b32 exec_lo, exec_lo, s16
.LBB24_4:                               ;   in Loop: Header=BB24_6 Depth=1
	s_delay_alu instid0(SALU_CYCLE_1)
	s_or_b32 exec_lo, exec_lo, s14
.LBB24_5:                               ;   in Loop: Header=BB24_6 Depth=1
	s_delay_alu instid0(SALU_CYCLE_1)
	s_or_b32 exec_lo, exec_lo, s0
	v_add_co_u32 v11, vcc_lo, v3, v6
	v_add_co_ci_u32_e32 v12, vcc_lo, 0, v4, vcc_lo
	v_add_co_u32 v13, vcc_lo, v3, v9
	v_add_co_ci_u32_e32 v14, vcc_lo, 0, v4, vcc_lo
	;; [unrolled: 2-line block ×3, first 2 shown]
	s_clause 0x6
	global_load_i8 v27, v[11:12], off offset:-17
	global_load_i8 v28, v[11:12], off offset:-15
	;; [unrolled: 1-line block ×4, first 2 shown]
	global_load_b32 v31, v[15:16], off offset:-81
	global_load_b32 v32, v[13:14], off offset:-209
	;; [unrolled: 1-line block ×3, first 2 shown]
	v_lshlrev_b64 v[11:12], 4, v[1:2]
	v_add_co_u32 v3, s0, v3, s5
	s_delay_alu instid0(VALU_DEP_1) | instskip(SKIP_1) | instid1(VALU_DEP_4)
	v_add_co_ci_u32_e64 v4, s0, 0, v4, s0
	v_add_nc_u32_e32 v1, s13, v1
	v_add_co_u32 v23, vcc_lo, s2, v11
	v_add_co_ci_u32_e32 v24, vcc_lo, s3, v12, vcc_lo
	s_clause 0x3
	global_load_b128 v[11:14], v[23:24], off offset:128
	global_load_b128 v[15:18], v[23:24], off
	global_load_b128 v[19:22], v[23:24], off offset:256
	global_load_b128 v[23:26], v[23:24], off offset:384
	s_waitcnt vmcnt(10)
	v_cvt_f32_i32_e32 v27, v27
	s_waitcnt vmcnt(9)
	v_cvt_f32_i32_e32 v28, v28
	;; [unrolled: 2-line block ×4, first 2 shown]
	s_waitcnt vmcnt(6)
	v_lshlrev_b32_e32 v38, 4, v31
	s_waitcnt vmcnt(5)
	v_and_b32_e32 v37, 15, v32
	s_waitcnt vmcnt(4)
	v_dual_mul_f32 v28, v10, v28 :: v_dual_and_b32 v39, 15, v33
	v_mul_f32_e32 v27, v10, v27
	v_mul_f32_e32 v29, v10, v29
	;; [unrolled: 1-line block ×3, first 2 shown]
	v_lshlrev_b32_e32 v40, 2, v31
	v_lshrrev_b32_e32 v36, 24, v31
	v_bfe_u32 v41, v32, 4, 4
	v_bfe_u32 v42, v33, 4, 4
	v_lshrrev_b32_e32 v43, 2, v31
	v_bfe_u32 v44, v32, 8, 4
	v_lshrrev_b32_e32 v45, 4, v31
	;; [unrolled: 2-line block ×3, first 2 shown]
	v_bfe_u32 v48, v32, 12, 4
	v_bfe_u32 v49, v33, 12, 4
	v_lshrrev_b32_e32 v50, 10, v31
	v_bfe_u32 v51, v32, 16, 4
	v_lshrrev_b32_e32 v52, 12, v31
	;; [unrolled: 2-line block ×3, first 2 shown]
	v_bfe_u32 v55, v32, 20, 4
	v_bfe_u32 v58, v32, 24, 4
	v_lshrrev_b32_e32 v32, 28, v32
	v_and_or_b32 v30, v38, 48, v37
	v_and_or_b32 v37, v40, 48, v39
	v_lshrrev_b32_e32 v34, 16, v31
	v_lshrrev_b32_e32 v35, 8, v31
	;; [unrolled: 1-line block ×6, first 2 shown]
	v_and_or_b32 v31, v31, 48, v41
	v_and_or_b32 v38, v43, 48, v42
	;; [unrolled: 1-line block ×8, first 2 shown]
	v_subrev_nc_u32_e32 v36, 32, v37
	v_bfe_u32 v56, v33, 20, 4
	v_bfe_u32 v60, v33, 24, 4
	v_and_or_b32 v34, v34, 48, v55
	v_subrev_nc_u32_e32 v30, 32, v30
	v_subrev_nc_u32_e32 v37, 32, v38
	;; [unrolled: 1-line block ×7, first 2 shown]
	v_cvt_f32_i32_e32 v36, v36
	v_and_or_b32 v35, v35, 48, v48
	v_and_or_b32 v44, v57, 48, v56
	v_and_or_b32 v45, v59, 48, v58
	v_and_or_b32 v46, v61, 48, v60
	v_subrev_nc_u32_e32 v31, 32, v31
	v_subrev_nc_u32_e32 v34, 32, v34
	v_cvt_f32_i32_e32 v30, v30
	v_cvt_f32_i32_e32 v38, v38
	;; [unrolled: 1-line block ×5, first 2 shown]
	v_mul_f32_e32 v36, v28, v36
	v_subrev_nc_u32_e32 v35, 32, v35
	v_subrev_nc_u32_e32 v43, 32, v44
	;; [unrolled: 1-line block ×4, first 2 shown]
	v_cvt_f32_i32_e32 v31, v31
	v_cvt_f32_i32_e32 v34, v34
	v_mul_f32_e32 v30, v27, v30
	v_dual_mul_f32 v38, v27, v38 :: v_dual_mul_f32 v39, v28, v39
	s_waitcnt vmcnt(3)
	s_delay_alu instid0(VALU_DEP_3)
	v_dual_mul_f32 v11, v11, v36 :: v_dual_mul_f32 v34, v29, v34
	v_dual_mul_f32 v36, v27, v41 :: v_dual_mul_f32 v41, v28, v42
	v_lshrrev_b32_e32 v33, 28, v33
	v_cvt_f32_i32_e32 v37, v37
	v_cvt_f32_i32_e32 v35, v35
	v_cvt_f32_i32_e32 v40, v40
	v_cvt_f32_i32_e32 v43, v43
	v_cvt_f32_i32_e32 v45, v45
	v_mul_f32_e32 v31, v29, v31
	s_waitcnt vmcnt(2)
	v_dual_mul_f32 v12, v12, v39 :: v_dual_fmac_f32 v11, v15, v30
	v_mul_f32_e32 v13, v13, v41
	v_and_or_b32 v33, v62, 48, v33
	v_subrev_nc_u32_e32 v32, 32, v32
	s_delay_alu instid0(VALU_DEP_4)
	v_fmac_f32_e32 v12, v16, v38
	v_cvt_f32_i32_e32 v44, v44
	v_mul_f32_e32 v37, v10, v37
	v_dual_mul_f32 v35, v29, v35 :: v_dual_mul_f32 v40, v10, v40
	v_dual_mul_f32 v15, v10, v43 :: v_dual_mul_f32 v28, v28, v45
	s_waitcnt vmcnt(1)
	v_fmac_f32_e32 v11, v19, v31
	s_delay_alu instid0(VALU_DEP_3) | instskip(SKIP_2) | instid1(VALU_DEP_3)
	v_dual_fmac_f32 v13, v17, v36 :: v_dual_fmac_f32 v12, v20, v35
	v_subrev_nc_u32_e32 v33, 32, v33
	v_cvt_f32_i32_e32 v32, v32
	v_dual_mul_f32 v16, v27, v44 :: v_dual_fmac_f32 v13, v21, v34
	s_waitcnt vmcnt(0)
	v_dual_mul_f32 v14, v14, v28 :: v_dual_fmac_f32 v11, v23, v37
	v_cvt_f32_i32_e32 v33, v33
	v_mul_f32_e32 v17, v29, v32
	s_delay_alu instid0(VALU_DEP_3) | instskip(NEXT) | instid1(VALU_DEP_4)
	v_dual_fmac_f32 v13, v25, v15 :: v_dual_fmac_f32 v14, v18, v16
	v_dual_fmac_f32 v12, v24, v40 :: v_dual_add_f32 v7, v7, v11
	s_delay_alu instid0(VALU_DEP_4) | instskip(NEXT) | instid1(VALU_DEP_3)
	v_mul_f32_e32 v10, v10, v33
	v_fmac_f32_e32 v14, v22, v17
	v_add_nc_u32_e32 v5, s6, v5
	s_delay_alu instid0(VALU_DEP_2) | instskip(NEXT) | instid1(VALU_DEP_2)
	v_dual_add_f32 v7, v7, v12 :: v_dual_fmac_f32 v14, v26, v10
	v_cmp_le_u32_e32 vcc_lo, s7, v5
	s_delay_alu instid0(VALU_DEP_2) | instskip(SKIP_1) | instid1(VALU_DEP_1)
	v_add_f32_e32 v7, v7, v13
	s_or_b32 s1, vcc_lo, s1
	v_add_f32_e32 v7, v7, v14
	s_and_not1_b32 exec_lo, exec_lo, s1
	s_cbranch_execz .LBB24_14
.LBB24_6:                               ; =>This Inner Loop Header: Depth=1
	global_load_u16 v10, v[3:4], off offset:-1
	s_mov_b32 s0, exec_lo
	s_waitcnt vmcnt(0)
	v_lshrrev_b16 v11, 8, v10
	s_delay_alu instid0(VALU_DEP_1) | instskip(NEXT) | instid1(VALU_DEP_1)
	v_and_b32_e32 v11, 0xffff, v11
	v_lshrrev_b32_e32 v12, 7, v11
	v_bfe_u32 v13, v11, 2, 5
	v_perm_b32 v11, v11, v10, 0x6050400
	s_delay_alu instid0(VALU_DEP_3) | instskip(NEXT) | instid1(VALU_DEP_3)
	v_lshlrev_b32_e32 v10, 31, v12
	v_cmpx_lt_i32_e32 30, v13
	s_xor_b32 s0, exec_lo, s0
; %bb.7:                                ;   in Loop: Header=BB24_6 Depth=1
	v_lshlrev_b32_e32 v10, 31, v12
	v_lshlrev_b32_e32 v11, 13, v11
                                        ; implicit-def: $vgpr13
                                        ; implicit-def: $vgpr12
	s_delay_alu instid0(VALU_DEP_1)
	v_or3_b32 v10, v11, v10, 0x7f800000
                                        ; implicit-def: $vgpr11
; %bb.8:                                ;   in Loop: Header=BB24_6 Depth=1
	s_and_not1_saveexec_b32 s0, s0
	s_cbranch_execz .LBB24_5
; %bb.9:                                ;   in Loop: Header=BB24_6 Depth=1
	v_and_b32_e32 v14, 0x3ff, v11
	s_mov_b32 s14, exec_lo
	v_cmpx_ne_u32_e32 0, v13
	s_xor_b32 s14, exec_lo, s14
; %bb.10:                               ;   in Loop: Header=BB24_6 Depth=1
	v_lshlrev_b32_e32 v10, 31, v12
	v_lshlrev_b32_e32 v11, 23, v13
	;; [unrolled: 1-line block ×3, first 2 shown]
                                        ; implicit-def: $vgpr14
	s_delay_alu instid0(VALU_DEP_1) | instskip(NEXT) | instid1(VALU_DEP_1)
	v_or3_b32 v10, v11, v10, v12
                                        ; implicit-def: $vgpr11
                                        ; implicit-def: $vgpr12
	v_add_nc_u32_e32 v10, 0x38000000, v10
; %bb.11:                               ;   in Loop: Header=BB24_6 Depth=1
	s_and_not1_saveexec_b32 s14, s14
	s_cbranch_execz .LBB24_4
; %bb.12:                               ;   in Loop: Header=BB24_6 Depth=1
	s_mov_b32 s16, exec_lo
	v_cmpx_ne_u32_e32 0, v14
	s_xor_b32 s16, exec_lo, s16
	s_cbranch_execz .LBB24_3
; %bb.13:                               ;   in Loop: Header=BB24_6 Depth=1
	v_clz_i32_u32_e32 v10, v14
	v_lshlrev_b32_e32 v12, 31, v12
	s_delay_alu instid0(VALU_DEP_2) | instskip(SKIP_1) | instid1(VALU_DEP_2)
	v_xor_b32_e32 v13, 31, v10
	v_lshlrev_b32_e32 v10, 23, v10
	v_sub_nc_u32_e32 v13, 9, v13
	s_delay_alu instid0(VALU_DEP_1) | instskip(NEXT) | instid1(VALU_DEP_1)
	v_lshlrev_b32_e32 v11, v13, v11
	v_lshlrev_b32_e32 v11, 14, v11
	s_delay_alu instid0(VALU_DEP_1) | instskip(NEXT) | instid1(VALU_DEP_1)
	v_and_or_b32 v11, 0x7fc000, v11, v12
	v_sub_nc_u32_e32 v10, v11, v10
	s_delay_alu instid0(VALU_DEP_1)
	v_add_nc_u32_e32 v10, 0x43000000, v10
	s_branch .LBB24_3
.LBB24_14:
	s_or_b32 exec_lo, exec_lo, s1
.LBB24_15:
	s_delay_alu instid0(SALU_CYCLE_1) | instskip(SKIP_2) | instid1(VALU_DEP_1)
	s_or_b32 exec_lo, exec_lo, s12
	v_mbcnt_lo_u32_b32 v4, -1, 0
	s_mov_b32 s0, exec_lo
	v_cmp_gt_u32_e32 vcc_lo, 16, v4
	v_cndmask_b32_e64 v1, 0, 1, vcc_lo
	v_cmp_gt_u32_e32 vcc_lo, 24, v4
	s_delay_alu instid0(VALU_DEP_2) | instskip(SKIP_2) | instid1(VALU_DEP_3)
	v_lshlrev_b32_e32 v1, 4, v1
	v_cndmask_b32_e64 v2, 0, 1, vcc_lo
	v_cmp_gt_u32_e32 vcc_lo, 28, v4
	v_add_lshl_u32 v1, v1, v4, 2
	ds_bpermute_b32 v3, v1, v7
	s_waitcnt lgkmcnt(0)
	v_dual_add_f32 v5, v7, v3 :: v_dual_lshlrev_b32 v2, 3, v2
	s_delay_alu instid0(VALU_DEP_1) | instskip(SKIP_4) | instid1(VALU_DEP_1)
	v_add_lshl_u32 v2, v2, v4, 2
	v_cndmask_b32_e64 v3, 0, 1, vcc_lo
	v_cmp_gt_u32_e32 vcc_lo, 30, v4
	ds_bpermute_b32 v6, v2, v5
	v_lshlrev_b32_e32 v3, 2, v3
	v_add_lshl_u32 v3, v3, v4, 2
	s_waitcnt lgkmcnt(0)
	v_add_f32_e32 v6, v5, v6
	v_cndmask_b32_e64 v5, 0, 1, vcc_lo
	v_cmp_ne_u32_e32 vcc_lo, 31, v4
	ds_bpermute_b32 v7, v3, v6
	v_lshlrev_b32_e32 v5, 1, v5
	v_add_co_ci_u32_e32 v8, vcc_lo, 0, v4, vcc_lo
	s_waitcnt lgkmcnt(0)
	v_add_f32_e32 v6, v6, v7
	s_delay_alu instid0(VALU_DEP_3)
	v_add_lshl_u32 v5, v5, v4, 2
	ds_bpermute_b32 v7, v5, v6
	s_waitcnt lgkmcnt(0)
	v_dual_add_f32 v4, v6, v7 :: v_dual_and_b32 v7, 31, v0
	v_lshlrev_b32_e32 v6, 2, v8
	ds_bpermute_b32 v8, v6, v4
	v_cmpx_eq_u32_e32 0, v7
	s_cbranch_execz .LBB24_17
; %bb.16:
	s_waitcnt lgkmcnt(0)
	v_add_f32_e32 v4, v4, v8
	v_lshrrev_b32_e32 v8, 3, v0
	ds_store_b32 v8, v4
.LBB24_17:
	s_or_b32 exec_lo, exec_lo, s0
	s_add_i32 s4, s4, 31
	v_mov_b32_e32 v4, 0
	s_lshr_b32 s0, s4, 5
	s_waitcnt lgkmcnt(0)
	v_cmp_gt_u32_e32 vcc_lo, s0, v0
	s_barrier
	buffer_gl0_inv
	s_and_saveexec_b32 s0, vcc_lo
	s_cbranch_execz .LBB24_19
; %bb.18:
	v_lshlrev_b32_e32 v4, 2, v7
	ds_load_b32 v4, v4
.LBB24_19:
	s_or_b32 exec_lo, exec_lo, s0
	s_delay_alu instid0(SALU_CYCLE_1)
	s_mov_b32 s0, exec_lo
	v_cmpx_gt_u32_e32 32, v0
	s_cbranch_execz .LBB24_21
; %bb.20:
	s_waitcnt lgkmcnt(0)
	ds_bpermute_b32 v1, v1, v4
	s_waitcnt lgkmcnt(0)
	v_add_f32_e32 v1, v4, v1
	ds_bpermute_b32 v2, v2, v1
	s_waitcnt lgkmcnt(0)
	v_add_f32_e32 v1, v1, v2
	;; [unrolled: 3-line block ×5, first 2 shown]
.LBB24_21:
	s_or_b32 exec_lo, exec_lo, s0
	s_mov_b32 s1, 0
	s_mov_b32 s0, exec_lo
	v_cmpx_eq_u32_e32 0, v0
	s_cbranch_execz .LBB24_25
; %bb.22:
	s_lshr_b32 s0, s10, 2
	s_delay_alu instid0(SALU_CYCLE_1) | instskip(NEXT) | instid1(SALU_CYCLE_1)
	s_add_i32 s0, s0, s15
	s_lshl_b64 s[0:1], s[0:1], 2
	s_delay_alu instid0(SALU_CYCLE_1)
	s_add_u32 s0, s8, s0
	s_addc_u32 s1, s9, s1
	s_cmp_eq_u32 s11, 0
	s_cbranch_scc1 .LBB24_24
; %bb.23:
	s_load_b32 s2, s[0:1], 0x0
	s_waitcnt lgkmcnt(0)
	v_add_f32_e32 v4, s2, v4
.LBB24_24:
	v_mov_b32_e32 v0, 0
	s_waitcnt lgkmcnt(0)
	global_store_b32 v0, v4, s[0:1]
.LBB24_25:
	s_nop 0
	s_sendmsg sendmsg(MSG_DEALLOC_VGPRS)
	s_endpgm
	.section	.rodata,"a",@progbits
	.p2align	6, 0x0
	.amdhsa_kernel dmmv_q6k_fast
		.amdhsa_group_segment_fixed_size 128
		.amdhsa_private_segment_fixed_size 0
		.amdhsa_kernarg_size 304
		.amdhsa_user_sgpr_count 15
		.amdhsa_user_sgpr_dispatch_ptr 0
		.amdhsa_user_sgpr_queue_ptr 0
		.amdhsa_user_sgpr_kernarg_segment_ptr 1
		.amdhsa_user_sgpr_dispatch_id 0
		.amdhsa_user_sgpr_private_segment_size 0
		.amdhsa_wavefront_size32 1
		.amdhsa_uses_dynamic_stack 0
		.amdhsa_enable_private_segment 0
		.amdhsa_system_sgpr_workgroup_id_x 1
		.amdhsa_system_sgpr_workgroup_id_y 0
		.amdhsa_system_sgpr_workgroup_id_z 0
		.amdhsa_system_sgpr_workgroup_info 0
		.amdhsa_system_vgpr_workitem_id 0
		.amdhsa_next_free_vgpr 63
		.amdhsa_next_free_sgpr 17
		.amdhsa_reserve_vcc 1
		.amdhsa_float_round_mode_32 0
		.amdhsa_float_round_mode_16_64 0
		.amdhsa_float_denorm_mode_32 3
		.amdhsa_float_denorm_mode_16_64 3
		.amdhsa_dx10_clamp 1
		.amdhsa_ieee_mode 1
		.amdhsa_fp16_overflow 0
		.amdhsa_workgroup_processor_mode 1
		.amdhsa_memory_ordered 1
		.amdhsa_forward_progress 0
		.amdhsa_shared_vgpr_count 0
		.amdhsa_exception_fp_ieee_invalid_op 0
		.amdhsa_exception_fp_denorm_src 0
		.amdhsa_exception_fp_ieee_div_zero 0
		.amdhsa_exception_fp_ieee_overflow 0
		.amdhsa_exception_fp_ieee_underflow 0
		.amdhsa_exception_fp_ieee_inexact 0
		.amdhsa_exception_int_div_zero 0
	.end_amdhsa_kernel
	.text
.Lfunc_end24:
	.size	dmmv_q6k_fast, .Lfunc_end24-dmmv_q6k_fast
                                        ; -- End function
	.section	.AMDGPU.csdata,"",@progbits
; Kernel info:
; codeLenInByte = 1968
; NumSgprs: 19
; NumVgprs: 63
; ScratchSize: 0
; MemoryBound: 0
; FloatMode: 240
; IeeeMode: 1
; LDSByteSize: 128 bytes/workgroup (compile time only)
; SGPRBlocks: 2
; VGPRBlocks: 7
; NumSGPRsForWavesPerEU: 19
; NumVGPRsForWavesPerEU: 63
; Occupancy: 16
; WaveLimiterHint : 1
; COMPUTE_PGM_RSRC2:SCRATCH_EN: 0
; COMPUTE_PGM_RSRC2:USER_SGPR: 15
; COMPUTE_PGM_RSRC2:TRAP_HANDLER: 0
; COMPUTE_PGM_RSRC2:TGID_X_EN: 1
; COMPUTE_PGM_RSRC2:TGID_Y_EN: 0
; COMPUTE_PGM_RSRC2:TGID_Z_EN: 0
; COMPUTE_PGM_RSRC2:TIDIG_COMP_CNT: 0
	.text
	.protected	dmmv_q5k_fast           ; -- Begin function dmmv_q5k_fast
	.globl	dmmv_q5k_fast
	.p2align	8
	.type	dmmv_q5k_fast,@function
dmmv_q5k_fast:                          ; @dmmv_q5k_fast
; %bb.0:
	s_load_b32 s2, s[0:1], 0x18
	s_add_u32 s10, s0, 24
	s_addc_u32 s11, s1, 0
	s_waitcnt lgkmcnt(0)
	s_cmp_ge_u32 s15, s2
	s_cbranch_scc1 .LBB25_37
; %bb.1:
	s_clause 0x4
	s_load_b128 s[4:7], s[0:1], 0x1c
	s_load_b64 s[8:9], s[0:1], 0x10
	s_load_b32 s12, s[0:1], 0x3c
	s_load_b128 s[0:3], s[0:1], 0x0
	s_load_b64 s[10:11], s[10:11], 0x10
	v_lshrrev_b32_e32 v1, 4, v0
	v_mov_b32_e32 v20, 0
	s_waitcnt lgkmcnt(0)
	s_lshr_b32 s7, s4, 8
	s_and_b32 s4, s12, 0xffff
	s_mov_b32 s12, exec_lo
	v_cmpx_gt_u32_e64 s7, v1
	s_cbranch_execz .LBB25_27
; %bb.2:
	v_and_b32_e32 v3, 4, v0
	v_lshlrev_b32_e32 v4, 3, v0
	v_bfe_u32 v2, v0, 3, 1
	s_and_b32 s13, s6, -4
	s_lshr_b32 s6, s5, 2
	s_add_u32 s2, s2, s13
	v_and_or_b32 v3, v4, 24, v3
	v_mad_u64_u32 v[20:21], null, s7, s15, v[1:2]
	v_lshlrev_b32_e32 v5, 1, v2
	v_lshlrev_b32_e32 v23, 6, v2
	;; [unrolled: 1-line block ×4, first 2 shown]
	v_lshl_or_b32 v2, v2, 5, v3
	v_lshrrev_b32_e32 v25, 2, v3
	s_addc_u32 s3, s3, 0
	s_lshr_b32 s5, s4, 4
	v_or3_b32 v23, v4, v23, v3
	v_lshrrev_b32_e32 v24, 2, v2
	v_mad_u64_u32 v[2:3], null, v20, 44, s[6:7]
	v_mov_b32_e32 v20, 0
	v_or_b32_e32 v7, 1, v5
	v_or_b32_e32 v8, 4, v5
	;; [unrolled: 1-line block ×15, first 2 shown]
	v_dual_mov_b32 v4, 0 :: v_dual_add_nc_u32 v25, 4, v25
	s_mov_b32 s6, 0
	s_lshl_b32 s13, s5, 8
	s_mul_i32 s14, s5, 44
	s_branch .LBB25_6
.LBB25_3:                               ;   in Loop: Header=BB25_6 Depth=1
	s_or_b32 exec_lo, exec_lo, s18
.LBB25_4:                               ;   in Loop: Header=BB25_6 Depth=1
	s_delay_alu instid0(SALU_CYCLE_1)
	s_or_b32 exec_lo, exec_lo, s17
.LBB25_5:                               ;   in Loop: Header=BB25_6 Depth=1
	s_delay_alu instid0(SALU_CYCLE_1) | instskip(SKIP_2) | instid1(VALU_DEP_2)
	s_or_b32 exec_lo, exec_lo, s16
	v_add_nc_u32_e32 v3, 1, v2
	v_add_nc_u32_e32 v1, s5, v1
	v_lshlrev_b64 v[28:29], 2, v[3:4]
	v_add_nc_u32_e32 v3, 2, v2
	s_delay_alu instid0(VALU_DEP_1) | instskip(SKIP_1) | instid1(VALU_DEP_4)
	v_lshlrev_b64 v[30:31], 2, v[3:4]
	v_add_nc_u32_e32 v3, 3, v2
	v_add_co_u32 v28, vcc_lo, s0, v28
	v_add_co_ci_u32_e32 v29, vcc_lo, s1, v29, vcc_lo
	s_delay_alu instid0(VALU_DEP_4) | instskip(NEXT) | instid1(VALU_DEP_4)
	v_add_co_u32 v30, vcc_lo, s0, v30
	v_lshlrev_b64 v[32:33], 2, v[3:4]
	v_add_co_ci_u32_e32 v31, vcc_lo, s1, v31, vcc_lo
	s_clause 0x1
	global_load_b32 v44, v[28:29], off
	global_load_b32 v45, v[30:31], off
	v_add_co_u32 v28, vcc_lo, s0, v32
	v_add_co_ci_u32_e32 v29, vcc_lo, s1, v33, vcc_lo
	v_add_nc_u32_e32 v3, v25, v2
	v_add_nc_u32_e32 v30, v24, v2
	;; [unrolled: 1-line block ×3, first 2 shown]
	global_load_b32 v46, v[28:29], off
	v_lshlrev_b64 v[28:29], 2, v[3:4]
	v_add_nc_u32_e32 v3, 12, v30
	s_delay_alu instid0(VALU_DEP_2) | instskip(NEXT) | instid1(VALU_DEP_3)
	v_add_co_u32 v28, vcc_lo, s0, v28
	v_add_co_ci_u32_e32 v29, vcc_lo, s1, v29, vcc_lo
	global_load_b32 v47, v[28:29], off
	v_lshlrev_b64 v[28:29], 2, v[3:4]
	v_add_nc_u32_e32 v3, 28, v30
	s_delay_alu instid0(VALU_DEP_2) | instskip(NEXT) | instid1(VALU_DEP_3)
	v_add_co_u32 v28, vcc_lo, s0, v28
	v_add_co_ci_u32_e32 v29, vcc_lo, s1, v29, vcc_lo
	global_load_b32 v48, v[28:29], off
	v_lshlrev_b64 v[28:29], 2, v[3:4]
	v_lshrrev_b32_e32 v3, 2, v23
	v_add_nc_u32_e32 v23, s13, v23
	s_delay_alu instid0(VALU_DEP_3) | instskip(NEXT) | instid1(VALU_DEP_4)
	v_add_co_u32 v28, vcc_lo, s0, v28
	v_add_co_ci_u32_e32 v29, vcc_lo, s1, v29, vcc_lo
	global_load_b32 v49, v[28:29], off
	v_lshlrev_b64 v[28:29], 4, v[3:4]
	s_delay_alu instid0(VALU_DEP_1) | instskip(NEXT) | instid1(VALU_DEP_2)
	v_add_co_u32 v40, vcc_lo, s2, v28
	v_add_co_ci_u32_e32 v41, vcc_lo, s3, v29, vcc_lo
	s_clause 0x3
	global_load_b128 v[28:31], v[40:41], off
	global_load_b128 v[32:35], v[40:41], off offset:128
	global_load_b128 v[36:39], v[40:41], off offset:512
	;; [unrolled: 1-line block ×3, first 2 shown]
	v_cmp_le_u32_e32 vcc_lo, s7, v1
	s_or_b32 s6, vcc_lo, s6
	s_waitcnt vmcnt(9)
	v_bfe_u32 v3, v44, v6, 6
	v_lshrrev_b32_e32 v44, v6, v44
	s_waitcnt vmcnt(8)
	v_lshrrev_b32_e32 v50, v6, v45
	v_bfe_u32 v45, v45, v6, 6
	v_cvt_f32_ubyte0_e32 v3, v3
	v_lshrrev_b32_e32 v52, 2, v44
	s_delay_alu instid0(VALU_DEP_4) | instskip(NEXT) | instid1(VALU_DEP_4)
	v_bfe_u32 v53, v50, 8, 6
	v_cvt_f32_ubyte0_e32 v45, v45
	s_waitcnt vmcnt(7)
	v_lshrrev_b32_e32 v46, v6, v46
	v_lshrrev_b32_e32 v54, 2, v50
	v_and_b32_e32 v52, 48, v52
	v_lshrrev_b32_e32 v50, 10, v50
	v_mul_f32_e32 v45, v27, v45
	v_cvt_f32_ubyte0_e32 v53, v53
	v_lshrrev_b32_e32 v55, 4, v46
	v_and_or_b32 v52, v46, 15, v52
	v_and_b32_e32 v54, 48, v54
	v_lshrrev_b32_e32 v56, 8, v46
	v_mul_f32_e32 v53, v27, v53
	v_lshrrev_b32_e32 v46, 12, v46
	v_and_b32_e32 v50, 48, v50
	v_bfe_u32 v51, v44, 8, 6
	v_lshrrev_b32_e32 v44, 10, v44
	s_waitcnt vmcnt(6)
	v_lshrrev_b32_e32 v57, v5, v47
	v_lshrrev_b32_e32 v58, v10, v47
	v_and_or_b32 v54, v55, 15, v54
	v_and_or_b32 v46, v46, 15, v50
	v_cvt_f32_ubyte0_e32 v51, v51
	v_dual_mul_f32 v3, v26, v3 :: v_dual_and_b32 v44, 48, v44
	s_delay_alu instid0(VALU_DEP_4)
	v_cvt_f32_ubyte0_e32 v54, v54
	v_lshlrev_b32_e32 v55, 4, v57
	v_lshlrev_b32_e32 v57, 4, v58
	v_cvt_f32_ubyte0_e32 v46, v46
	v_mul_f32_e32 v51, v26, v51
	v_and_or_b32 v44, v56, 15, v44
	v_mul_f32_e32 v54, v27, v54
	s_waitcnt vmcnt(5)
	v_dual_mul_f32 v27, v27, v46 :: v_dual_and_b32 v50, 15, v48
	v_lshrrev_b32_e32 v56, 8, v48
	v_cvt_f32_ubyte0_e32 v52, v52
	v_cvt_f32_ubyte0_e32 v44, v44
	s_delay_alu instid0(VALU_DEP_4)
	v_and_or_b32 v50, v55, 16, v50
	v_and_b32_e32 v55, 16, v57
	v_lshrrev_b32_e32 v59, v11, v47
	v_lshrrev_b32_e32 v60, v12, v47
	;; [unrolled: 1-line block ×4, first 2 shown]
	v_and_or_b32 v46, v56, 15, v55
	v_mul_f32_e32 v52, v26, v52
	v_mul_f32_e32 v26, v26, v44
	v_cvt_f32_ubyte0_e32 v44, v50
	v_lshlrev_b32_e32 v59, 4, v59
	v_cvt_f32_ubyte0_e32 v46, v46
	v_lshlrev_b32_e32 v61, 4, v61
	v_lshrrev_b32_e32 v58, 16, v48
	v_fma_f32 v44, v3, v44, -v45
	v_lshrrev_b32_e32 v72, 24, v48
	v_fma_f32 v46, v3, v46, -v45
	v_lshlrev_b32_e32 v60, 4, v60
	v_lshrrev_b32_e32 v74, 12, v48
	v_and_b32_e32 v57, 16, v59
	v_lshrrev_b32_e32 v73, 4, v48
	s_waitcnt vmcnt(3)
	v_mul_f32_e32 v29, v29, v46
	v_lshlrev_b32_e32 v62, 4, v62
	v_and_b32_e32 v59, 16, v60
	v_and_b32_e32 v60, 16, v61
	v_and_or_b32 v50, v58, 15, v57
	v_fmac_f32_e32 v29, v28, v44
	v_and_b32_e32 v61, 16, v62
	v_and_or_b32 v55, v72, 15, v59
	v_and_or_b32 v56, v73, 15, v60
	v_cvt_f32_ubyte0_e32 v50, v50
	v_lshrrev_b32_e32 v63, v14, v47
	v_and_or_b32 v57, v74, 15, v61
	v_cvt_f32_ubyte0_e32 v55, v55
	v_lshrrev_b32_e32 v64, v15, v47
	v_lshrrev_b32_e32 v65, v8, v47
	;; [unrolled: 1-line block ×3, first 2 shown]
	v_cvt_f32_ubyte0_e32 v57, v57
	v_cvt_f32_ubyte0_e32 v56, v56
	v_fma_f32 v50, v3, v50, -v45
	v_fma_f32 v3, v3, v55, -v45
	v_lshrrev_b32_e32 v75, 20, v48
	v_fma_f32 v55, v51, v57, -v53
	v_lshlrev_b32_e32 v63, 4, v63
	v_alignbit_b32 v48, v64, v48, 28
	v_fma_f32 v45, v51, v56, -v53
	v_lshrrev_b32_e32 v67, v17, v47
	s_waitcnt vmcnt(2)
	v_mul_f32_e32 v33, v55, v33
	v_lshlrev_b32_e32 v64, 4, v65
	v_lshlrev_b32_e32 v65, 4, v66
	v_lshrrev_b32_e32 v68, v18, v47
	v_lshrrev_b32_e32 v69, v9, v47
	v_fmac_f32_e32 v33, v45, v32
	v_lshrrev_b32_e32 v70, v19, v47
	v_lshrrev_b32_e32 v71, v21, v47
	;; [unrolled: 1-line block ×3, first 2 shown]
	v_and_b32_e32 v62, 16, v63
	v_and_b32_e32 v63, 16, v64
	v_lshrrev_b32_e32 v64, 8, v49
	v_and_b32_e32 v65, 16, v65
	v_lshlrev_b32_e32 v66, 4, v67
	v_lshlrev_b32_e32 v67, 4, v68
	v_dual_fmac_f32 v29, v30, v50 :: v_dual_lshlrev_b32 v68, 4, v69
	v_lshlrev_b32_e32 v69, 4, v70
	v_lshlrev_b32_e32 v70, 4, v71
	v_and_b32_e32 v48, 31, v48
	v_lshrrev_b32_e32 v71, 16, v49
	v_fmac_f32_e32 v29, v31, v3
	v_lshrrev_b32_e32 v76, 24, v49
	v_lshrrev_b32_e32 v77, 4, v49
	;; [unrolled: 1-line block ×4, first 2 shown]
	v_alignbit_b32 v47, v47, v49, 28
	v_and_or_b32 v58, v75, 15, v62
	v_and_or_b32 v49, v49, 15, v63
	;; [unrolled: 1-line block ×3, first 2 shown]
	v_cvt_f32_ubyte0_e32 v48, v48
	v_and_b32_e32 v67, 16, v67
	v_cvt_f32_ubyte0_e32 v58, v58
	v_cvt_f32_ubyte0_e32 v49, v49
	;; [unrolled: 1-line block ×3, first 2 shown]
	v_fma_f32 v48, v51, v48, -v53
	v_and_or_b32 v61, v76, 15, v67
	v_fma_f32 v51, v51, v58, -v53
	v_fma_f32 v46, v52, v49, -v54
	;; [unrolled: 1-line block ×3, first 2 shown]
	v_and_b32_e32 v69, 16, v69
	v_cvt_f32_ubyte0_e32 v61, v61
	v_dual_fmac_f32 v33, v51, v34 :: v_dual_add_f32 v20, v20, v29
	s_waitcnt vmcnt(1)
	v_dual_mul_f32 v37, v49, v37 :: v_dual_and_b32 v66, 16, v66
	v_and_or_b32 v63, v78, 15, v69
	s_delay_alu instid0(VALU_DEP_3) | instskip(SKIP_1) | instid1(VALU_DEP_4)
	v_fmac_f32_e32 v33, v48, v35
	v_fma_f32 v28, v52, v61, -v54
	v_fmac_f32_e32 v37, v46, v36
	v_and_or_b32 v60, v71, 15, v66
	v_and_b32_e32 v70, 16, v70
	v_cvt_f32_ubyte0_e32 v63, v63
	v_and_b32_e32 v47, 31, v47
	s_delay_alu instid0(VALU_DEP_4) | instskip(NEXT) | instid1(VALU_DEP_4)
	v_cvt_f32_ubyte0_e32 v60, v60
	v_and_or_b32 v64, v79, 15, v70
	s_delay_alu instid0(VALU_DEP_4) | instskip(NEXT) | instid1(VALU_DEP_4)
	v_fma_f32 v44, v26, v63, -v27
	v_cvt_f32_ubyte0_e32 v47, v47
	s_delay_alu instid0(VALU_DEP_4) | instskip(NEXT) | instid1(VALU_DEP_4)
	v_fma_f32 v53, v52, v60, -v54
	v_cvt_f32_ubyte0_e32 v64, v64
	s_waitcnt vmcnt(0)
	s_delay_alu instid0(VALU_DEP_2) | instskip(SKIP_1) | instid1(VALU_DEP_3)
	v_dual_mul_f32 v32, v44, v41 :: v_dual_fmac_f32 v37, v53, v38
	v_and_b32_e32 v68, 16, v68
	v_fma_f32 v3, v26, v64, -v27
	s_delay_alu instid0(VALU_DEP_3) | instskip(NEXT) | instid1(VALU_DEP_3)
	v_fmac_f32_e32 v37, v28, v39
	v_and_or_b32 v62, v77, 15, v68
	s_delay_alu instid0(VALU_DEP_1) | instskip(NEXT) | instid1(VALU_DEP_1)
	v_cvt_f32_ubyte0_e32 v62, v62
	v_fma_f32 v30, v26, v62, -v27
	v_fma_f32 v26, v26, v47, -v27
	s_delay_alu instid0(VALU_DEP_2) | instskip(NEXT) | instid1(VALU_DEP_1)
	v_fmac_f32_e32 v32, v30, v40
	v_dual_fmac_f32 v32, v3, v42 :: v_dual_add_f32 v3, v20, v33
	s_delay_alu instid0(VALU_DEP_1) | instskip(NEXT) | instid1(VALU_DEP_1)
	v_dual_fmac_f32 v32, v26, v43 :: v_dual_add_f32 v3, v3, v37
	v_add_f32_e32 v20, v3, v32
	s_and_not1_b32 exec_lo, exec_lo, s6
	s_cbranch_execz .LBB25_26
.LBB25_6:                               ; =>This Inner Loop Header: Depth=1
	v_mov_b32_e32 v3, v4
	s_mov_b32 s16, exec_lo
	s_delay_alu instid0(VALU_DEP_1) | instskip(NEXT) | instid1(VALU_DEP_1)
	v_lshlrev_b64 v[26:27], 2, v[2:3]
	v_add_co_u32 v26, vcc_lo, s0, v26
	s_delay_alu instid0(VALU_DEP_2) | instskip(SKIP_4) | instid1(VALU_DEP_2)
	v_add_co_ci_u32_e32 v27, vcc_lo, s1, v27, vcc_lo
	global_load_b32 v3, v[26:27], off
	s_waitcnt vmcnt(0)
	v_bfe_u32 v27, v3, 15, 1
	v_bfe_u32 v28, v3, 10, 5
	v_lshlrev_b32_e32 v26, 31, v27
	s_delay_alu instid0(VALU_DEP_2)
	v_cmpx_lt_i32_e32 30, v28
	s_xor_b32 s16, exec_lo, s16
; %bb.7:                                ;   in Loop: Header=BB25_6 Depth=1
	v_and_b32_e32 v26, 0xffff, v3
	v_lshlrev_b32_e32 v27, 31, v27
                                        ; implicit-def: $vgpr28
	s_delay_alu instid0(VALU_DEP_2) | instskip(NEXT) | instid1(VALU_DEP_1)
	v_lshlrev_b32_e32 v26, 13, v26
	v_or3_b32 v26, v27, v26, 0x7f800000
                                        ; implicit-def: $vgpr27
; %bb.8:                                ;   in Loop: Header=BB25_6 Depth=1
	s_and_not1_saveexec_b32 s16, s16
	s_cbranch_execz .LBB25_16
; %bb.9:                                ;   in Loop: Header=BB25_6 Depth=1
	v_and_b32_e32 v29, 0x3ff, v3
	s_mov_b32 s17, exec_lo
	v_cmpx_ne_u32_e32 0, v28
	s_xor_b32 s17, exec_lo, s17
; %bb.10:                               ;   in Loop: Header=BB25_6 Depth=1
	v_lshlrev_b32_e32 v26, 31, v27
	v_lshlrev_b32_e32 v27, 23, v28
	;; [unrolled: 1-line block ×3, first 2 shown]
                                        ; implicit-def: $vgpr29
	s_delay_alu instid0(VALU_DEP_1) | instskip(NEXT) | instid1(VALU_DEP_1)
	v_or3_b32 v26, v27, v26, v28
                                        ; implicit-def: $vgpr27
	v_add_nc_u32_e32 v26, 0x38000000, v26
; %bb.11:                               ;   in Loop: Header=BB25_6 Depth=1
	s_and_not1_saveexec_b32 s17, s17
	s_cbranch_execz .LBB25_15
; %bb.12:                               ;   in Loop: Header=BB25_6 Depth=1
	s_mov_b32 s18, exec_lo
	v_cmpx_ne_u32_e32 0, v29
	s_xor_b32 s18, exec_lo, s18
; %bb.13:                               ;   in Loop: Header=BB25_6 Depth=1
	v_clz_i32_u32_e32 v26, v29
	v_lshlrev_b32_e32 v27, 31, v27
	s_delay_alu instid0(VALU_DEP_2) | instskip(SKIP_1) | instid1(VALU_DEP_2)
	v_xor_b32_e32 v28, 31, v26
	v_lshlrev_b32_e32 v26, 23, v26
	v_sub_nc_u32_e32 v28, 9, v28
	s_delay_alu instid0(VALU_DEP_1) | instskip(NEXT) | instid1(VALU_DEP_1)
	v_lshlrev_b32_e32 v28, v28, v3
	v_lshlrev_b32_e32 v28, 14, v28
	s_delay_alu instid0(VALU_DEP_1) | instskip(NEXT) | instid1(VALU_DEP_1)
	v_and_or_b32 v27, 0x7fc000, v28, v27
	v_sub_nc_u32_e32 v26, v27, v26
	s_delay_alu instid0(VALU_DEP_1)
	v_add_nc_u32_e32 v26, 0x43000000, v26
; %bb.14:                               ;   in Loop: Header=BB25_6 Depth=1
	s_and_not1_saveexec_b32 s18, s18
	s_delay_alu instid0(SALU_CYCLE_1)
	s_or_b32 exec_lo, exec_lo, s18
.LBB25_15:                              ;   in Loop: Header=BB25_6 Depth=1
	s_delay_alu instid0(SALU_CYCLE_1)
	s_or_b32 exec_lo, exec_lo, s17
.LBB25_16:                              ;   in Loop: Header=BB25_6 Depth=1
	s_delay_alu instid0(SALU_CYCLE_1) | instskip(SKIP_3) | instid1(VALU_DEP_2)
	s_or_b32 exec_lo, exec_lo, s16
	v_bfe_u32 v29, v3, 26, 5
	v_lshrrev_b32_e32 v28, 16, v3
	s_mov_b32 s16, exec_lo
                                        ; implicit-def: $vgpr27
	v_cmpx_lt_i32_e32 30, v29
	s_xor_b32 s16, exec_lo, s16
; %bb.17:                               ;   in Loop: Header=BB25_6 Depth=1
	v_and_b32_e32 v3, 0x80000000, v3
	v_lshlrev_b32_e32 v27, 13, v28
                                        ; implicit-def: $vgpr28
                                        ; implicit-def: $vgpr29
	s_delay_alu instid0(VALU_DEP_1)
	v_or3_b32 v27, v27, v3, 0x7f800000
                                        ; implicit-def: $vgpr3
; %bb.18:                               ;   in Loop: Header=BB25_6 Depth=1
	s_and_not1_saveexec_b32 s16, s16
	s_cbranch_execz .LBB25_5
; %bb.19:                               ;   in Loop: Header=BB25_6 Depth=1
	v_and_b32_e32 v30, 0x3ff, v28
	s_mov_b32 s17, exec_lo
                                        ; implicit-def: $vgpr27
	v_cmpx_ne_u32_e32 0, v29
	s_xor_b32 s17, exec_lo, s17
; %bb.20:                               ;   in Loop: Header=BB25_6 Depth=1
	v_and_b32_e32 v3, 0x80000000, v3
	v_lshlrev_b32_e32 v27, 23, v29
	v_lshlrev_b32_e32 v28, 13, v30
                                        ; implicit-def: $vgpr30
	s_delay_alu instid0(VALU_DEP_1) | instskip(NEXT) | instid1(VALU_DEP_1)
	v_or3_b32 v3, v27, v3, v28
                                        ; implicit-def: $vgpr28
	v_add_nc_u32_e32 v27, 0x38000000, v3
                                        ; implicit-def: $vgpr3
; %bb.21:                               ;   in Loop: Header=BB25_6 Depth=1
	s_and_not1_saveexec_b32 s17, s17
	s_cbranch_execz .LBB25_4
; %bb.22:                               ;   in Loop: Header=BB25_6 Depth=1
	s_mov_b32 s18, exec_lo
                                        ; implicit-def: $vgpr27
	v_cmpx_ne_u32_e32 0, v30
	s_xor_b32 s18, exec_lo, s18
; %bb.23:                               ;   in Loop: Header=BB25_6 Depth=1
	v_clz_i32_u32_e32 v27, v30
	s_delay_alu instid0(VALU_DEP_1) | instskip(SKIP_1) | instid1(VALU_DEP_2)
	v_xor_b32_e32 v29, 31, v27
	v_lshlrev_b32_e32 v27, 23, v27
	v_sub_nc_u32_e32 v29, 9, v29
	s_delay_alu instid0(VALU_DEP_1) | instskip(NEXT) | instid1(VALU_DEP_1)
	v_lshlrev_b32_e32 v28, v29, v28
	v_lshlrev_b32_e32 v28, 14, v28
	s_delay_alu instid0(VALU_DEP_1) | instskip(NEXT) | instid1(VALU_DEP_1)
	v_and_b32_e32 v28, 0x7fc000, v28
	v_and_or_b32 v3, 0x80000000, v3, v28
	s_delay_alu instid0(VALU_DEP_1) | instskip(NEXT) | instid1(VALU_DEP_1)
	v_sub_nc_u32_e32 v3, v3, v27
	v_add_nc_u32_e32 v27, 0x43000000, v3
                                        ; implicit-def: $vgpr3
; %bb.24:                               ;   in Loop: Header=BB25_6 Depth=1
	s_and_not1_saveexec_b32 s18, s18
	s_cbranch_execz .LBB25_3
; %bb.25:                               ;   in Loop: Header=BB25_6 Depth=1
	v_and_b32_e32 v27, 0x80000000, v3
	s_branch .LBB25_3
.LBB25_26:
	s_or_b32 exec_lo, exec_lo, s6
.LBB25_27:
	s_delay_alu instid0(SALU_CYCLE_1) | instskip(SKIP_2) | instid1(VALU_DEP_1)
	s_or_b32 exec_lo, exec_lo, s12
	v_mbcnt_lo_u32_b32 v4, -1, 0
	s_mov_b32 s0, exec_lo
	v_cmp_gt_u32_e32 vcc_lo, 16, v4
	v_cndmask_b32_e64 v1, 0, 1, vcc_lo
	v_cmp_gt_u32_e32 vcc_lo, 24, v4
	s_delay_alu instid0(VALU_DEP_2) | instskip(SKIP_2) | instid1(VALU_DEP_3)
	v_lshlrev_b32_e32 v1, 4, v1
	v_cndmask_b32_e64 v2, 0, 1, vcc_lo
	v_cmp_gt_u32_e32 vcc_lo, 28, v4
	v_add_lshl_u32 v1, v1, v4, 2
	ds_bpermute_b32 v3, v1, v20
	s_waitcnt lgkmcnt(0)
	v_dual_add_f32 v5, v20, v3 :: v_dual_lshlrev_b32 v2, 3, v2
	s_delay_alu instid0(VALU_DEP_1) | instskip(SKIP_4) | instid1(VALU_DEP_1)
	v_add_lshl_u32 v2, v2, v4, 2
	v_cndmask_b32_e64 v3, 0, 1, vcc_lo
	v_cmp_gt_u32_e32 vcc_lo, 30, v4
	ds_bpermute_b32 v6, v2, v5
	v_lshlrev_b32_e32 v3, 2, v3
	v_add_lshl_u32 v3, v3, v4, 2
	s_waitcnt lgkmcnt(0)
	v_add_f32_e32 v6, v5, v6
	v_cndmask_b32_e64 v5, 0, 1, vcc_lo
	v_cmp_ne_u32_e32 vcc_lo, 31, v4
	ds_bpermute_b32 v7, v3, v6
	v_lshlrev_b32_e32 v5, 1, v5
	v_add_co_ci_u32_e32 v8, vcc_lo, 0, v4, vcc_lo
	s_waitcnt lgkmcnt(0)
	v_add_f32_e32 v6, v6, v7
	s_delay_alu instid0(VALU_DEP_3)
	v_add_lshl_u32 v5, v5, v4, 2
	ds_bpermute_b32 v7, v5, v6
	s_waitcnt lgkmcnt(0)
	v_dual_add_f32 v4, v6, v7 :: v_dual_and_b32 v7, 31, v0
	v_lshlrev_b32_e32 v6, 2, v8
	ds_bpermute_b32 v8, v6, v4
	v_cmpx_eq_u32_e32 0, v7
	s_cbranch_execz .LBB25_29
; %bb.28:
	s_waitcnt lgkmcnt(0)
	v_add_f32_e32 v4, v4, v8
	v_lshrrev_b32_e32 v8, 3, v0
	ds_store_b32 v8, v4
.LBB25_29:
	s_or_b32 exec_lo, exec_lo, s0
	s_add_i32 s4, s4, 31
	v_mov_b32_e32 v4, 0
	s_lshr_b32 s0, s4, 5
	s_waitcnt lgkmcnt(0)
	v_cmp_gt_u32_e32 vcc_lo, s0, v0
	s_barrier
	buffer_gl0_inv
	s_and_saveexec_b32 s0, vcc_lo
	s_cbranch_execz .LBB25_31
; %bb.30:
	v_lshlrev_b32_e32 v4, 2, v7
	ds_load_b32 v4, v4
.LBB25_31:
	s_or_b32 exec_lo, exec_lo, s0
	s_delay_alu instid0(SALU_CYCLE_1)
	s_mov_b32 s0, exec_lo
	v_cmpx_gt_u32_e32 32, v0
	s_cbranch_execz .LBB25_33
; %bb.32:
	s_waitcnt lgkmcnt(0)
	ds_bpermute_b32 v1, v1, v4
	s_waitcnt lgkmcnt(0)
	v_add_f32_e32 v1, v4, v1
	ds_bpermute_b32 v2, v2, v1
	s_waitcnt lgkmcnt(0)
	v_add_f32_e32 v1, v1, v2
	;; [unrolled: 3-line block ×5, first 2 shown]
.LBB25_33:
	s_or_b32 exec_lo, exec_lo, s0
	s_mov_b32 s1, 0
	s_mov_b32 s0, exec_lo
	v_cmpx_eq_u32_e32 0, v0
	s_cbranch_execz .LBB25_37
; %bb.34:
	s_lshr_b32 s0, s10, 2
	s_delay_alu instid0(SALU_CYCLE_1) | instskip(NEXT) | instid1(SALU_CYCLE_1)
	s_add_i32 s0, s0, s15
	s_lshl_b64 s[0:1], s[0:1], 2
	s_delay_alu instid0(SALU_CYCLE_1)
	s_add_u32 s0, s8, s0
	s_addc_u32 s1, s9, s1
	s_cmp_eq_u32 s11, 0
	s_cbranch_scc1 .LBB25_36
; %bb.35:
	s_load_b32 s2, s[0:1], 0x0
	s_waitcnt lgkmcnt(0)
	v_add_f32_e32 v4, s2, v4
.LBB25_36:
	v_mov_b32_e32 v0, 0
	s_waitcnt lgkmcnt(0)
	global_store_b32 v0, v4, s[0:1]
.LBB25_37:
	s_nop 0
	s_sendmsg sendmsg(MSG_DEALLOC_VGPRS)
	s_endpgm
	.section	.rodata,"a",@progbits
	.p2align	6, 0x0
	.amdhsa_kernel dmmv_q5k_fast
		.amdhsa_group_segment_fixed_size 128
		.amdhsa_private_segment_fixed_size 0
		.amdhsa_kernarg_size 304
		.amdhsa_user_sgpr_count 15
		.amdhsa_user_sgpr_dispatch_ptr 0
		.amdhsa_user_sgpr_queue_ptr 0
		.amdhsa_user_sgpr_kernarg_segment_ptr 1
		.amdhsa_user_sgpr_dispatch_id 0
		.amdhsa_user_sgpr_private_segment_size 0
		.amdhsa_wavefront_size32 1
		.amdhsa_uses_dynamic_stack 0
		.amdhsa_enable_private_segment 0
		.amdhsa_system_sgpr_workgroup_id_x 1
		.amdhsa_system_sgpr_workgroup_id_y 0
		.amdhsa_system_sgpr_workgroup_id_z 0
		.amdhsa_system_sgpr_workgroup_info 0
		.amdhsa_system_vgpr_workitem_id 0
		.amdhsa_next_free_vgpr 80
		.amdhsa_next_free_sgpr 19
		.amdhsa_reserve_vcc 1
		.amdhsa_float_round_mode_32 0
		.amdhsa_float_round_mode_16_64 0
		.amdhsa_float_denorm_mode_32 3
		.amdhsa_float_denorm_mode_16_64 3
		.amdhsa_dx10_clamp 1
		.amdhsa_ieee_mode 1
		.amdhsa_fp16_overflow 0
		.amdhsa_workgroup_processor_mode 1
		.amdhsa_memory_ordered 1
		.amdhsa_forward_progress 0
		.amdhsa_shared_vgpr_count 0
		.amdhsa_exception_fp_ieee_invalid_op 0
		.amdhsa_exception_fp_denorm_src 0
		.amdhsa_exception_fp_ieee_div_zero 0
		.amdhsa_exception_fp_ieee_overflow 0
		.amdhsa_exception_fp_ieee_underflow 0
		.amdhsa_exception_fp_ieee_inexact 0
		.amdhsa_exception_int_div_zero 0
	.end_amdhsa_kernel
	.text
.Lfunc_end25:
	.size	dmmv_q5k_fast, .Lfunc_end25-dmmv_q5k_fast
                                        ; -- End function
	.section	.AMDGPU.csdata,"",@progbits
; Kernel info:
; codeLenInByte = 2556
; NumSgprs: 21
; NumVgprs: 80
; ScratchSize: 0
; MemoryBound: 0
; FloatMode: 240
; IeeeMode: 1
; LDSByteSize: 128 bytes/workgroup (compile time only)
; SGPRBlocks: 2
; VGPRBlocks: 9
; NumSGPRsForWavesPerEU: 21
; NumVGPRsForWavesPerEU: 80
; Occupancy: 16
; WaveLimiterHint : 1
; COMPUTE_PGM_RSRC2:SCRATCH_EN: 0
; COMPUTE_PGM_RSRC2:USER_SGPR: 15
; COMPUTE_PGM_RSRC2:TRAP_HANDLER: 0
; COMPUTE_PGM_RSRC2:TGID_X_EN: 1
; COMPUTE_PGM_RSRC2:TGID_Y_EN: 0
; COMPUTE_PGM_RSRC2:TGID_Z_EN: 0
; COMPUTE_PGM_RSRC2:TIDIG_COMP_CNT: 0
	.text
	.protected	dmmv_q4k_experts        ; -- Begin function dmmv_q4k_experts
	.globl	dmmv_q4k_experts
	.p2align	8
	.type	dmmv_q4k_experts,@function
dmmv_q4k_experts:                       ; @dmmv_q4k_experts
; %bb.0:
	s_clause 0x1
	s_load_b32 s14, s[0:1], 0x20
	s_load_b32 s3, s[0:1], 0x30
	s_waitcnt lgkmcnt(0)
	v_cvt_f32_u32_e32 v1, s14
	s_sub_i32 s4, 0, s14
	s_delay_alu instid0(VALU_DEP_1) | instskip(SKIP_2) | instid1(VALU_DEP_1)
	v_rcp_iflag_f32_e32 v1, v1
	s_waitcnt_depctr 0xfff
	v_mul_f32_e32 v1, 0x4f7ffffe, v1
	v_cvt_u32_f32_e32 v1, v1
	s_delay_alu instid0(VALU_DEP_1) | instskip(NEXT) | instid1(VALU_DEP_1)
	v_readfirstlane_b32 s2, v1
	s_mul_i32 s4, s4, s2
	s_delay_alu instid0(SALU_CYCLE_1) | instskip(NEXT) | instid1(SALU_CYCLE_1)
	s_mul_hi_u32 s4, s2, s4
	s_add_i32 s2, s2, s4
	s_delay_alu instid0(SALU_CYCLE_1) | instskip(NEXT) | instid1(SALU_CYCLE_1)
	s_mul_hi_u32 s2, s15, s2
	s_mul_i32 s4, s2, s14
	s_add_i32 s5, s2, 1
	s_sub_i32 s4, s15, s4
	s_delay_alu instid0(SALU_CYCLE_1)
	s_sub_i32 s6, s4, s14
	s_cmp_ge_u32 s4, s14
	s_cselect_b32 s2, s5, s2
	s_cselect_b32 s4, s6, s4
	s_add_i32 s5, s2, 1
	s_cmp_ge_u32 s4, s14
	s_cselect_b32 s2, s5, s2
	s_delay_alu instid0(SALU_CYCLE_1)
	s_cmp_ge_u32 s2, s3
	s_mov_b32 s3, 0
	s_cbranch_scc1 .LBB26_35
; %bb.1:
	s_clause 0x2
	s_load_b128 s[16:19], s[0:1], 0x24
	s_load_b32 s13, s[0:1], 0x44
	s_load_b256 s[4:11], s[0:1], 0x0
	v_lshrrev_b32_e32 v5, 4, v0
	v_mov_b32_e32 v6, 0
	s_mul_i32 s12, s2, s14
	s_delay_alu instid0(SALU_CYCLE_1)
	s_sub_i32 s12, s15, s12
	s_mov_b32 s15, exec_lo
	s_waitcnt lgkmcnt(0)
	s_lshr_b32 s16, s16, 8
	s_and_b32 s13, s13, 0xffff
	v_cmpx_gt_u32_e64 s16, v5
	s_cbranch_execz .LBB26_27
; %bb.2:
	s_lshl_b64 s[20:21], s[2:3], 2
	v_bfe_u32 v1, v0, 3, 1
	s_add_u32 s10, s10, s20
	s_addc_u32 s11, s11, s21
	v_lshlrev_b32_e32 v4, 3, v0
	s_load_b32 s3, s[10:11], 0x0
	s_load_b32 s10, s[0:1], 0x34
	v_dual_mov_b32 v2, 0 :: v_dual_and_b32 v3, 4, v0
	v_dual_mov_b32 v6, 0 :: v_dual_lshlrev_b32 v7, 6, v1
	v_and_b32_e32 v4, 24, v4
	v_lshlrev_b32_e32 v8, 5, v1
	v_mul_u32_u24_e32 v10, 36, v5
	s_delay_alu instid0(VALU_DEP_4)
	v_lshl_or_b32 v9, v5, 8, v7
	s_mul_hi_u32 s1, s18, s2
	s_mul_i32 s0, s18, s2
	v_or3_b32 v11, v8, v4, v3
	s_mul_i32 s11, s16, s12
	s_lshl_b64 s[0:1], s[0:1], 2
	s_mul_i32 s11, s11, 36
	v_lshlrev_b32_e32 v7, 4, v1
	v_or3_b32 v8, v9, v4, v3
	v_lshrrev_b32_e32 v9, 2, v11
	s_waitcnt lgkmcnt(0)
	s_mul_i32 s3, s3, s17
	s_delay_alu instid0(SALU_CYCLE_1) | instskip(NEXT) | instid1(SALU_CYCLE_1)
	s_add_i32 s3, s3, s10
	s_lshr_b32 s10, s3, 2
	s_add_u32 s0, s6, s0
	v_add3_u32 v3, s10, s11, v10
	s_addc_u32 s1, s7, s1
	s_lshr_b32 s3, s13, 4
	s_mov_b32 s7, 0
	s_lshl_b32 s6, s3, 8
	s_mul_i32 s10, s3, 36
	s_branch .LBB26_6
.LBB26_3:                               ;   in Loop: Header=BB26_6 Depth=1
	s_or_b32 exec_lo, exec_lo, s18
.LBB26_4:                               ;   in Loop: Header=BB26_6 Depth=1
	s_delay_alu instid0(SALU_CYCLE_1)
	s_or_b32 exec_lo, exec_lo, s17
.LBB26_5:                               ;   in Loop: Header=BB26_6 Depth=1
	s_delay_alu instid0(SALU_CYCLE_1) | instskip(SKIP_3) | instid1(VALU_DEP_3)
	s_or_b32 exec_lo, exec_lo, s11
	v_add_nc_u32_e32 v1, 1, v3
	v_add_nc_u32_e32 v17, v9, v3
	;; [unrolled: 1-line block ×3, first 2 shown]
	v_lshlrev_b64 v[11:12], 2, v[1:2]
	v_add_nc_u32_e32 v1, 2, v3
	s_delay_alu instid0(VALU_DEP_1) | instskip(SKIP_1) | instid1(VALU_DEP_4)
	v_lshlrev_b64 v[13:14], 2, v[1:2]
	v_add_nc_u32_e32 v1, 3, v3
	v_add_co_u32 v11, vcc_lo, s4, v11
	v_add_co_ci_u32_e32 v12, vcc_lo, s5, v12, vcc_lo
	s_delay_alu instid0(VALU_DEP_4) | instskip(NEXT) | instid1(VALU_DEP_4)
	v_add_co_u32 v13, vcc_lo, s4, v13
	v_lshlrev_b64 v[15:16], 2, v[1:2]
	v_add_co_ci_u32_e32 v14, vcc_lo, s5, v14, vcc_lo
	s_clause 0x1
	global_load_b32 v27, v[11:12], off
	global_load_b32 v28, v[13:14], off
	v_add_co_u32 v11, vcc_lo, s4, v15
	v_add_co_ci_u32_e32 v12, vcc_lo, s5, v16, vcc_lo
	v_add_nc_u32_e32 v3, s10, v3
	global_load_b32 v29, v[11:12], off
	s_waitcnt vmcnt(1)
	v_lshrrev_b32_e32 v32, v7, v28
	v_bfe_u32 v28, v28, v7, 6
	s_delay_alu instid0(VALU_DEP_2) | instskip(SKIP_1) | instid1(VALU_DEP_3)
	v_bfe_u32 v35, v32, 8, 6
	v_lshrrev_b32_e32 v36, 2, v32
	v_cvt_f32_ubyte0_e32 v28, v28
	s_waitcnt vmcnt(0)
	v_lshrrev_b32_e32 v29, v7, v29
	v_lshrrev_b32_e32 v32, 10, v32
	v_cvt_f32_ubyte0_e32 v35, v35
	v_and_b32_e32 v36, 48, v36
	v_mul_f32_e32 v28, v10, v28
	v_lshrrev_b32_e32 v37, 4, v29
	v_lshrrev_b32_e32 v38, 8, v29
	v_dual_mul_f32 v35, v10, v35 :: v_dual_and_b32 v32, 48, v32
	s_delay_alu instid0(VALU_DEP_3) | instskip(NEXT) | instid1(VALU_DEP_1)
	v_and_or_b32 v36, v37, 15, v36
	v_cvt_f32_ubyte0_e32 v36, v36
	s_delay_alu instid0(VALU_DEP_1) | instskip(NEXT) | instid1(VALU_DEP_1)
	v_dual_mul_f32 v36, v10, v36 :: v_dual_add_nc_u32 v1, 4, v17
	v_lshlrev_b64 v[11:12], 2, v[1:2]
	v_add_nc_u32_e32 v1, 20, v17
	s_delay_alu instid0(VALU_DEP_2) | instskip(NEXT) | instid1(VALU_DEP_3)
	v_add_co_u32 v11, vcc_lo, s4, v11
	v_add_co_ci_u32_e32 v12, vcc_lo, s5, v12, vcc_lo
	global_load_b32 v30, v[11:12], off
	v_lshlrev_b64 v[11:12], 2, v[1:2]
	v_lshrrev_b32_e32 v1, 2, v8
	v_add_nc_u32_e32 v8, s6, v8
	s_delay_alu instid0(VALU_DEP_3) | instskip(NEXT) | instid1(VALU_DEP_4)
	v_add_co_u32 v11, vcc_lo, s4, v11
	v_add_co_ci_u32_e32 v12, vcc_lo, s5, v12, vcc_lo
	global_load_b32 v31, v[11:12], off
	v_lshlrev_b64 v[11:12], 4, v[1:2]
	v_bfe_u32 v1, v27, v7, 6
	v_lshrrev_b32_e32 v27, v7, v27
	s_delay_alu instid0(VALU_DEP_3) | instskip(NEXT) | instid1(VALU_DEP_4)
	v_add_co_u32 v23, vcc_lo, s0, v11
	v_add_co_ci_u32_e32 v24, vcc_lo, s1, v12, vcc_lo
	s_clause 0x3
	global_load_b128 v[11:14], v[23:24], off
	global_load_b128 v[15:18], v[23:24], off offset:128
	global_load_b128 v[19:22], v[23:24], off offset:512
	;; [unrolled: 1-line block ×3, first 2 shown]
	v_cvt_f32_ubyte0_e32 v1, v1
	v_bfe_u32 v33, v27, 8, 6
	v_lshrrev_b32_e32 v34, 2, v27
	v_lshrrev_b32_e32 v27, 10, v27
	v_cmp_le_u32_e32 vcc_lo, s16, v5
	v_mul_f32_e32 v1, v4, v1
	v_cvt_f32_ubyte0_e32 v33, v33
	v_and_b32_e32 v34, 48, v34
	s_or_b32 s7, vcc_lo, s7
	s_delay_alu instid0(VALU_DEP_2) | instskip(NEXT) | instid1(VALU_DEP_2)
	v_mul_f32_e32 v33, v4, v33
	v_and_or_b32 v34, v29, 15, v34
	v_lshrrev_b32_e32 v29, 12, v29
	s_delay_alu instid0(VALU_DEP_2) | instskip(NEXT) | instid1(VALU_DEP_2)
	v_cvt_f32_ubyte0_e32 v34, v34
	v_and_or_b32 v29, v29, 15, v32
	s_delay_alu instid0(VALU_DEP_2) | instskip(NEXT) | instid1(VALU_DEP_2)
	v_mul_f32_e32 v34, v4, v34
	v_cvt_f32_ubyte0_e32 v29, v29
	s_delay_alu instid0(VALU_DEP_1) | instskip(NEXT) | instid1(VALU_DEP_1)
	v_dual_mul_f32 v10, v10, v29 :: v_dual_and_b32 v27, 48, v27
	v_and_or_b32 v27, v38, 15, v27
	s_delay_alu instid0(VALU_DEP_1) | instskip(NEXT) | instid1(VALU_DEP_1)
	v_cvt_f32_ubyte0_e32 v27, v27
	v_mul_f32_e32 v4, v4, v27
	s_waitcnt vmcnt(5)
	v_bfe_u32 v40, v30, 8, 4
	v_bfe_u32 v41, v30, 16, 4
	;; [unrolled: 1-line block ×5, first 2 shown]
	v_cvt_f32_ubyte0_e32 v37, v40
	v_bfe_u32 v45, v30, 20, 4
	v_cvt_f32_ubyte0_e32 v38, v41
	v_cvt_f32_ubyte0_e32 v41, v44
	;; [unrolled: 1-line block ×3, first 2 shown]
	v_fma_f32 v37, v1, v37, -v28
	s_delay_alu instid0(VALU_DEP_4)
	v_fma_f32 v38, v1, v38, -v28
	s_waitcnt vmcnt(4)
	v_bfe_u32 v44, v31, 8, 4
	v_bfe_u32 v48, v31, 12, 4
	;; [unrolled: 1-line block ×5, first 2 shown]
	s_waitcnt vmcnt(3)
	v_dual_mul_f32 v12, v12, v37 :: v_dual_and_b32 v39, 15, v30
	v_lshrrev_b32_e32 v30, 28, v30
	s_delay_alu instid0(VALU_DEP_2) | instskip(SKIP_2) | instid1(VALU_DEP_4)
	v_cvt_f32_ubyte0_e32 v32, v39
	v_cvt_f32_ubyte0_e32 v39, v42
	v_cvt_f32_ubyte0_e32 v42, v45
	v_cvt_f32_ubyte0_e32 v30, v30
	v_bfe_u32 v45, v31, 16, 4
	v_fma_f32 v32, v1, v32, -v28
	v_fma_f32 v1, v1, v39, -v28
	;; [unrolled: 1-line block ×5, first 2 shown]
	v_dual_fmac_f32 v12, v11, v32 :: v_dual_and_b32 v43, 15, v31
	v_fma_f32 v30, v33, v30, -v35
	v_cvt_f32_ubyte0_e32 v35, v44
	v_cvt_f32_ubyte0_e32 v44, v48
	s_delay_alu instid0(VALU_DEP_4)
	v_fmac_f32_e32 v12, v13, v38
	s_waitcnt vmcnt(2)
	v_mul_f32_e32 v16, v39, v16
	v_cvt_f32_ubyte0_e32 v33, v43
	v_cvt_f32_ubyte0_e32 v43, v47
	v_fma_f32 v29, v4, v44, -v10
	v_lshrrev_b32_e32 v31, 28, v31
	v_fmac_f32_e32 v16, v28, v15
	v_fma_f32 v15, v34, v35, -v36
	v_cvt_f32_ubyte0_e32 v41, v45
	v_cvt_f32_ubyte0_e32 v45, v49
	v_fma_f32 v11, v34, v33, -v36
	v_cvt_f32_ubyte0_e32 v42, v46
	s_waitcnt vmcnt(1)
	v_mul_f32_e32 v13, v15, v20
	v_fma_f32 v15, v4, v43, -v10
	s_waitcnt vmcnt(0)
	v_dual_fmac_f32 v16, v40, v17 :: v_dual_mul_f32 v17, v29, v24
	v_cvt_f32_ubyte0_e32 v31, v31
	v_fma_f32 v27, v34, v41, -v36
	v_dual_fmac_f32 v12, v1, v14 :: v_dual_fmac_f32 v13, v11, v19
	v_fma_f32 v1, v4, v45, -v10
	v_dual_fmac_f32 v16, v30, v18 :: v_dual_fmac_f32 v17, v15, v23
	v_fma_f32 v28, v34, v42, -v36
	s_delay_alu instid0(VALU_DEP_4) | instskip(SKIP_1) | instid1(VALU_DEP_4)
	v_dual_add_f32 v6, v6, v12 :: v_dual_fmac_f32 v13, v27, v21
	v_fma_f32 v4, v4, v31, -v10
	v_fmac_f32_e32 v17, v1, v25
	s_delay_alu instid0(VALU_DEP_3) | instskip(NEXT) | instid1(VALU_DEP_2)
	v_add_f32_e32 v1, v6, v16
	v_fmac_f32_e32 v17, v4, v26
	v_fmac_f32_e32 v13, v28, v22
	s_delay_alu instid0(VALU_DEP_1) | instskip(NEXT) | instid1(VALU_DEP_1)
	v_add_f32_e32 v1, v1, v13
	v_add_f32_e32 v6, v1, v17
	s_and_not1_b32 exec_lo, exec_lo, s7
	s_cbranch_execz .LBB26_26
.LBB26_6:                               ; =>This Inner Loop Header: Depth=1
	v_mov_b32_e32 v4, v2
	s_mov_b32 s11, exec_lo
	s_delay_alu instid0(VALU_DEP_1) | instskip(NEXT) | instid1(VALU_DEP_1)
	v_lshlrev_b64 v[10:11], 2, v[3:4]
	v_add_co_u32 v10, vcc_lo, s4, v10
	s_delay_alu instid0(VALU_DEP_2) | instskip(SKIP_4) | instid1(VALU_DEP_2)
	v_add_co_ci_u32_e32 v11, vcc_lo, s5, v11, vcc_lo
	global_load_b32 v1, v[10:11], off
	s_waitcnt vmcnt(0)
	v_bfe_u32 v10, v1, 15, 1
	v_bfe_u32 v11, v1, 10, 5
	v_lshlrev_b32_e32 v4, 31, v10
	s_delay_alu instid0(VALU_DEP_2)
	v_cmpx_lt_i32_e32 30, v11
	s_xor_b32 s11, exec_lo, s11
; %bb.7:                                ;   in Loop: Header=BB26_6 Depth=1
	v_and_b32_e32 v4, 0xffff, v1
	v_lshlrev_b32_e32 v10, 31, v10
                                        ; implicit-def: $vgpr11
	s_delay_alu instid0(VALU_DEP_2) | instskip(NEXT) | instid1(VALU_DEP_1)
	v_lshlrev_b32_e32 v4, 13, v4
	v_or3_b32 v4, v10, v4, 0x7f800000
                                        ; implicit-def: $vgpr10
; %bb.8:                                ;   in Loop: Header=BB26_6 Depth=1
	s_and_not1_saveexec_b32 s11, s11
	s_cbranch_execz .LBB26_16
; %bb.9:                                ;   in Loop: Header=BB26_6 Depth=1
	v_and_b32_e32 v12, 0x3ff, v1
	s_mov_b32 s17, exec_lo
	v_cmpx_ne_u32_e32 0, v11
	s_xor_b32 s17, exec_lo, s17
; %bb.10:                               ;   in Loop: Header=BB26_6 Depth=1
	v_lshlrev_b32_e32 v4, 31, v10
	v_lshlrev_b32_e32 v10, 23, v11
	;; [unrolled: 1-line block ×3, first 2 shown]
                                        ; implicit-def: $vgpr12
	s_delay_alu instid0(VALU_DEP_1) | instskip(NEXT) | instid1(VALU_DEP_1)
	v_or3_b32 v4, v10, v4, v11
                                        ; implicit-def: $vgpr10
	v_add_nc_u32_e32 v4, 0x38000000, v4
; %bb.11:                               ;   in Loop: Header=BB26_6 Depth=1
	s_and_not1_saveexec_b32 s17, s17
	s_cbranch_execz .LBB26_15
; %bb.12:                               ;   in Loop: Header=BB26_6 Depth=1
	s_mov_b32 s18, exec_lo
	v_cmpx_ne_u32_e32 0, v12
	s_xor_b32 s18, exec_lo, s18
; %bb.13:                               ;   in Loop: Header=BB26_6 Depth=1
	v_clz_i32_u32_e32 v4, v12
	v_lshlrev_b32_e32 v10, 31, v10
	s_delay_alu instid0(VALU_DEP_2) | instskip(SKIP_1) | instid1(VALU_DEP_2)
	v_xor_b32_e32 v11, 31, v4
	v_lshlrev_b32_e32 v4, 23, v4
	v_sub_nc_u32_e32 v11, 9, v11
	s_delay_alu instid0(VALU_DEP_1) | instskip(NEXT) | instid1(VALU_DEP_1)
	v_lshlrev_b32_e32 v11, v11, v1
	v_lshlrev_b32_e32 v11, 14, v11
	s_delay_alu instid0(VALU_DEP_1) | instskip(NEXT) | instid1(VALU_DEP_1)
	v_and_or_b32 v10, 0x7fc000, v11, v10
	v_sub_nc_u32_e32 v4, v10, v4
	s_delay_alu instid0(VALU_DEP_1)
	v_add_nc_u32_e32 v4, 0x43000000, v4
; %bb.14:                               ;   in Loop: Header=BB26_6 Depth=1
	s_and_not1_saveexec_b32 s18, s18
	s_delay_alu instid0(SALU_CYCLE_1)
	s_or_b32 exec_lo, exec_lo, s18
.LBB26_15:                              ;   in Loop: Header=BB26_6 Depth=1
	s_delay_alu instid0(SALU_CYCLE_1)
	s_or_b32 exec_lo, exec_lo, s17
.LBB26_16:                              ;   in Loop: Header=BB26_6 Depth=1
	s_delay_alu instid0(SALU_CYCLE_1) | instskip(SKIP_3) | instid1(VALU_DEP_2)
	s_or_b32 exec_lo, exec_lo, s11
	v_bfe_u32 v12, v1, 26, 5
	v_lshrrev_b32_e32 v11, 16, v1
	s_mov_b32 s11, exec_lo
                                        ; implicit-def: $vgpr10
	v_cmpx_lt_i32_e32 30, v12
	s_xor_b32 s11, exec_lo, s11
; %bb.17:                               ;   in Loop: Header=BB26_6 Depth=1
	v_and_b32_e32 v1, 0x80000000, v1
	v_lshlrev_b32_e32 v10, 13, v11
                                        ; implicit-def: $vgpr11
                                        ; implicit-def: $vgpr12
	s_delay_alu instid0(VALU_DEP_1)
	v_or3_b32 v10, v10, v1, 0x7f800000
                                        ; implicit-def: $vgpr1
; %bb.18:                               ;   in Loop: Header=BB26_6 Depth=1
	s_and_not1_saveexec_b32 s11, s11
	s_cbranch_execz .LBB26_5
; %bb.19:                               ;   in Loop: Header=BB26_6 Depth=1
	v_and_b32_e32 v13, 0x3ff, v11
	s_mov_b32 s17, exec_lo
                                        ; implicit-def: $vgpr10
	v_cmpx_ne_u32_e32 0, v12
	s_xor_b32 s17, exec_lo, s17
; %bb.20:                               ;   in Loop: Header=BB26_6 Depth=1
	v_and_b32_e32 v1, 0x80000000, v1
	v_lshlrev_b32_e32 v10, 23, v12
	v_lshlrev_b32_e32 v11, 13, v13
                                        ; implicit-def: $vgpr13
	s_delay_alu instid0(VALU_DEP_1) | instskip(NEXT) | instid1(VALU_DEP_1)
	v_or3_b32 v1, v10, v1, v11
                                        ; implicit-def: $vgpr11
	v_add_nc_u32_e32 v10, 0x38000000, v1
                                        ; implicit-def: $vgpr1
; %bb.21:                               ;   in Loop: Header=BB26_6 Depth=1
	s_and_not1_saveexec_b32 s17, s17
	s_cbranch_execz .LBB26_4
; %bb.22:                               ;   in Loop: Header=BB26_6 Depth=1
	s_mov_b32 s18, exec_lo
                                        ; implicit-def: $vgpr10
	v_cmpx_ne_u32_e32 0, v13
	s_xor_b32 s18, exec_lo, s18
; %bb.23:                               ;   in Loop: Header=BB26_6 Depth=1
	v_clz_i32_u32_e32 v10, v13
	s_delay_alu instid0(VALU_DEP_1) | instskip(SKIP_1) | instid1(VALU_DEP_2)
	v_xor_b32_e32 v12, 31, v10
	v_lshlrev_b32_e32 v10, 23, v10
	v_sub_nc_u32_e32 v12, 9, v12
	s_delay_alu instid0(VALU_DEP_1) | instskip(NEXT) | instid1(VALU_DEP_1)
	v_lshlrev_b32_e32 v11, v12, v11
	v_lshlrev_b32_e32 v11, 14, v11
	s_delay_alu instid0(VALU_DEP_1) | instskip(NEXT) | instid1(VALU_DEP_1)
	v_and_b32_e32 v11, 0x7fc000, v11
	v_and_or_b32 v1, 0x80000000, v1, v11
	s_delay_alu instid0(VALU_DEP_1) | instskip(NEXT) | instid1(VALU_DEP_1)
	v_sub_nc_u32_e32 v1, v1, v10
	v_add_nc_u32_e32 v10, 0x43000000, v1
                                        ; implicit-def: $vgpr1
; %bb.24:                               ;   in Loop: Header=BB26_6 Depth=1
	s_and_not1_saveexec_b32 s18, s18
	s_cbranch_execz .LBB26_3
; %bb.25:                               ;   in Loop: Header=BB26_6 Depth=1
	v_and_b32_e32 v10, 0x80000000, v1
	s_branch .LBB26_3
.LBB26_26:
	s_or_b32 exec_lo, exec_lo, s7
.LBB26_27:
	s_delay_alu instid0(SALU_CYCLE_1) | instskip(SKIP_2) | instid1(VALU_DEP_1)
	s_or_b32 exec_lo, exec_lo, s15
	v_mbcnt_lo_u32_b32 v5, -1, 0
	s_mov_b32 s0, exec_lo
	v_cmp_gt_u32_e32 vcc_lo, 16, v5
	v_cndmask_b32_e64 v1, 0, 1, vcc_lo
	v_cmp_gt_u32_e32 vcc_lo, 24, v5
	s_delay_alu instid0(VALU_DEP_2) | instskip(SKIP_2) | instid1(VALU_DEP_3)
	v_lshlrev_b32_e32 v1, 4, v1
	v_cndmask_b32_e64 v2, 0, 1, vcc_lo
	v_cmp_gt_u32_e32 vcc_lo, 28, v5
	v_add_lshl_u32 v1, v1, v5, 2
	s_delay_alu instid0(VALU_DEP_3)
	v_lshlrev_b32_e32 v2, 3, v2
	ds_bpermute_b32 v3, v1, v6
	v_add_lshl_u32 v2, v2, v5, 2
	s_waitcnt lgkmcnt(0)
	v_add_f32_e32 v4, v6, v3
	v_cndmask_b32_e64 v3, 0, 1, vcc_lo
	v_cmp_gt_u32_e32 vcc_lo, 30, v5
	ds_bpermute_b32 v6, v2, v4
	s_waitcnt lgkmcnt(0)
	v_dual_add_f32 v6, v4, v6 :: v_dual_lshlrev_b32 v3, 2, v3
	s_delay_alu instid0(VALU_DEP_1)
	v_add_lshl_u32 v3, v3, v5, 2
	v_cndmask_b32_e64 v4, 0, 1, vcc_lo
	v_cmp_ne_u32_e32 vcc_lo, 31, v5
	ds_bpermute_b32 v7, v3, v6
	v_lshlrev_b32_e32 v4, 1, v4
	v_add_co_ci_u32_e32 v8, vcc_lo, 0, v5, vcc_lo
	s_delay_alu instid0(VALU_DEP_2)
	v_add_lshl_u32 v4, v4, v5, 2
	s_waitcnt lgkmcnt(0)
	v_add_f32_e32 v6, v6, v7
	ds_bpermute_b32 v7, v4, v6
	s_waitcnt lgkmcnt(0)
	v_add_f32_e32 v5, v6, v7
	v_and_b32_e32 v7, 31, v0
	v_lshlrev_b32_e32 v6, 2, v8
	ds_bpermute_b32 v8, v6, v5
	v_cmpx_eq_u32_e32 0, v7
	s_cbranch_execz .LBB26_29
; %bb.28:
	s_waitcnt lgkmcnt(0)
	v_add_f32_e32 v5, v5, v8
	v_lshrrev_b32_e32 v8, 3, v0
	ds_store_b32 v8, v5
.LBB26_29:
	s_or_b32 exec_lo, exec_lo, s0
	s_add_i32 s13, s13, 31
	v_mov_b32_e32 v5, 0
	s_lshr_b32 s0, s13, 5
	s_waitcnt lgkmcnt(0)
	v_cmp_gt_u32_e32 vcc_lo, s0, v0
	s_barrier
	buffer_gl0_inv
	s_and_saveexec_b32 s0, vcc_lo
	s_cbranch_execz .LBB26_31
; %bb.30:
	v_lshlrev_b32_e32 v5, 2, v7
	ds_load_b32 v5, v5
.LBB26_31:
	s_or_b32 exec_lo, exec_lo, s0
	s_delay_alu instid0(SALU_CYCLE_1)
	s_mov_b32 s0, exec_lo
	v_cmpx_gt_u32_e32 32, v0
	s_cbranch_execz .LBB26_33
; %bb.32:
	s_waitcnt lgkmcnt(0)
	ds_bpermute_b32 v1, v1, v5
	s_waitcnt lgkmcnt(0)
	v_add_f32_e32 v1, v5, v1
	ds_bpermute_b32 v2, v2, v1
	s_waitcnt lgkmcnt(0)
	v_add_f32_e32 v1, v1, v2
	ds_bpermute_b32 v2, v3, v1
	s_waitcnt lgkmcnt(0)
	v_add_f32_e32 v1, v1, v2
	ds_bpermute_b32 v2, v4, v1
	s_waitcnt lgkmcnt(0)
	v_add_f32_e32 v1, v1, v2
	ds_bpermute_b32 v2, v6, v1
	s_waitcnt lgkmcnt(0)
	v_add_f32_e32 v5, v1, v2
.LBB26_33:
	s_or_b32 exec_lo, exec_lo, s0
	s_mov_b32 s13, 0
	s_mov_b32 s0, exec_lo
	v_cmpx_eq_u32_e32 0, v0
	s_cbranch_execz .LBB26_35
; %bb.34:
	s_mul_hi_u32 s1, s2, s14
	s_mul_i32 s0, s2, s14
	v_mov_b32_e32 v0, 0
	s_lshl_b64 s[0:1], s[0:1], 2
	s_delay_alu instid0(SALU_CYCLE_1) | instskip(SKIP_2) | instid1(SALU_CYCLE_1)
	s_add_u32 s2, s8, s0
	s_addc_u32 s3, s9, s1
	s_lshl_b64 s[0:1], s[12:13], 2
	s_add_u32 s0, s2, s0
	s_addc_u32 s1, s3, s1
	s_waitcnt lgkmcnt(0)
	global_store_b32 v0, v5, s[0:1]
.LBB26_35:
	s_nop 0
	s_sendmsg sendmsg(MSG_DEALLOC_VGPRS)
	s_endpgm
	.section	.rodata,"a",@progbits
	.p2align	6, 0x0
	.amdhsa_kernel dmmv_q4k_experts
		.amdhsa_group_segment_fixed_size 128
		.amdhsa_private_segment_fixed_size 0
		.amdhsa_kernarg_size 312
		.amdhsa_user_sgpr_count 15
		.amdhsa_user_sgpr_dispatch_ptr 0
		.amdhsa_user_sgpr_queue_ptr 0
		.amdhsa_user_sgpr_kernarg_segment_ptr 1
		.amdhsa_user_sgpr_dispatch_id 0
		.amdhsa_user_sgpr_private_segment_size 0
		.amdhsa_wavefront_size32 1
		.amdhsa_uses_dynamic_stack 0
		.amdhsa_enable_private_segment 0
		.amdhsa_system_sgpr_workgroup_id_x 1
		.amdhsa_system_sgpr_workgroup_id_y 0
		.amdhsa_system_sgpr_workgroup_id_z 0
		.amdhsa_system_sgpr_workgroup_info 0
		.amdhsa_system_vgpr_workitem_id 0
		.amdhsa_next_free_vgpr 50
		.amdhsa_next_free_sgpr 22
		.amdhsa_reserve_vcc 1
		.amdhsa_float_round_mode_32 0
		.amdhsa_float_round_mode_16_64 0
		.amdhsa_float_denorm_mode_32 3
		.amdhsa_float_denorm_mode_16_64 3
		.amdhsa_dx10_clamp 1
		.amdhsa_ieee_mode 1
		.amdhsa_fp16_overflow 0
		.amdhsa_workgroup_processor_mode 1
		.amdhsa_memory_ordered 1
		.amdhsa_forward_progress 0
		.amdhsa_shared_vgpr_count 0
		.amdhsa_exception_fp_ieee_invalid_op 0
		.amdhsa_exception_fp_denorm_src 0
		.amdhsa_exception_fp_ieee_div_zero 0
		.amdhsa_exception_fp_ieee_overflow 0
		.amdhsa_exception_fp_ieee_underflow 0
		.amdhsa_exception_fp_ieee_inexact 0
		.amdhsa_exception_int_div_zero 0
	.end_amdhsa_kernel
	.text
.Lfunc_end26:
	.size	dmmv_q4k_experts, .Lfunc_end26-dmmv_q4k_experts
                                        ; -- End function
	.section	.AMDGPU.csdata,"",@progbits
; Kernel info:
; codeLenInByte = 2372
; NumSgprs: 24
; NumVgprs: 50
; ScratchSize: 0
; MemoryBound: 0
; FloatMode: 240
; IeeeMode: 1
; LDSByteSize: 128 bytes/workgroup (compile time only)
; SGPRBlocks: 2
; VGPRBlocks: 6
; NumSGPRsForWavesPerEU: 24
; NumVGPRsForWavesPerEU: 50
; Occupancy: 16
; WaveLimiterHint : 1
; COMPUTE_PGM_RSRC2:SCRATCH_EN: 0
; COMPUTE_PGM_RSRC2:USER_SGPR: 15
; COMPUTE_PGM_RSRC2:TRAP_HANDLER: 0
; COMPUTE_PGM_RSRC2:TGID_X_EN: 1
; COMPUTE_PGM_RSRC2:TGID_Y_EN: 0
; COMPUTE_PGM_RSRC2:TGID_Z_EN: 0
; COMPUTE_PGM_RSRC2:TIDIG_COMP_CNT: 0
	.text
	.protected	dmmv_q5k_experts        ; -- Begin function dmmv_q5k_experts
	.globl	dmmv_q5k_experts
	.p2align	8
	.type	dmmv_q5k_experts,@function
dmmv_q5k_experts:                       ; @dmmv_q5k_experts
; %bb.0:
	s_clause 0x1
	s_load_b32 s14, s[0:1], 0x20
	s_load_b32 s2, s[0:1], 0x30
	s_mov_b32 s13, 0
	s_waitcnt lgkmcnt(0)
	v_cvt_f32_u32_e32 v1, s14
	s_sub_i32 s4, 0, s14
	s_delay_alu instid0(VALU_DEP_1) | instskip(SKIP_2) | instid1(VALU_DEP_1)
	v_rcp_iflag_f32_e32 v1, v1
	s_waitcnt_depctr 0xfff
	v_mul_f32_e32 v1, 0x4f7ffffe, v1
	v_cvt_u32_f32_e32 v1, v1
	s_delay_alu instid0(VALU_DEP_1) | instskip(NEXT) | instid1(VALU_DEP_1)
	v_readfirstlane_b32 s3, v1
	s_mul_i32 s4, s4, s3
	s_delay_alu instid0(SALU_CYCLE_1) | instskip(NEXT) | instid1(SALU_CYCLE_1)
	s_mul_hi_u32 s4, s3, s4
	s_add_i32 s3, s3, s4
	s_delay_alu instid0(SALU_CYCLE_1) | instskip(NEXT) | instid1(SALU_CYCLE_1)
	s_mul_hi_u32 s3, s15, s3
	s_mul_i32 s4, s3, s14
	s_add_i32 s5, s3, 1
	s_sub_i32 s4, s15, s4
	s_delay_alu instid0(SALU_CYCLE_1)
	s_sub_i32 s6, s4, s14
	s_cmp_ge_u32 s4, s14
	s_cselect_b32 s3, s5, s3
	s_cselect_b32 s4, s6, s4
	s_add_i32 s5, s3, 1
	s_cmp_ge_u32 s4, s14
	s_cselect_b32 s12, s5, s3
	s_delay_alu instid0(SALU_CYCLE_1)
	s_cmp_ge_u32 s12, s2
	s_cbranch_scc1 .LBB27_35
; %bb.1:
	s_load_b128 s[8:11], s[0:1], 0x24
	s_waitcnt lgkmcnt(0)
	s_clause 0x1
	s_load_b32 s11, s[0:1], 0x44
	s_load_b256 s[0:7], s[0:1], 0x0
	v_lshrrev_b32_e32 v4, 4, v0
	v_mov_b32_e32 v22, 0
	s_lshr_b32 s16, s8, 8
	s_mul_i32 s8, s12, s14
	s_waitcnt lgkmcnt(0)
	s_and_b32 s11, s11, 0xffff
	s_sub_i32 s8, s15, s8
	s_mov_b32 s15, exec_lo
	v_cmpx_gt_u32_e64 s16, v4
	s_cbranch_execz .LBB27_27
; %bb.2:
	s_lshl_b64 s[18:19], s[12:13], 2
	v_and_b32_e32 v2, 4, v0
	s_add_u32 s6, s6, s18
	s_addc_u32 s7, s7, s19
	v_lshlrev_b32_e32 v3, 3, v0
	s_load_b32 s13, s[6:7], 0x0
	v_bfe_u32 v1, v0, 3, 1
	s_mul_hi_u32 s7, s10, s12
	s_mul_i32 s6, s10, s12
	v_and_or_b32 v2, v3, 24, v2
	s_lshl_b64 s[6:7], s[6:7], 2
	v_lshlrev_b32_e32 v5, 1, v1
	v_lshlrev_b32_e32 v22, 6, v1
	;; [unrolled: 1-line block ×4, first 2 shown]
	v_lshl_or_b32 v1, v1, 5, v2
	v_mul_u32_u24_e32 v25, 44, v4
	v_lshrrev_b32_e32 v26, 2, v2
	s_delay_alu instid0(VALU_DEP_4)
	v_or3_b32 v23, v3, v22, v2
	v_mov_b32_e32 v22, 0
	v_or_b32_e32 v7, 1, v5
	v_or_b32_e32 v8, 4, v5
	;; [unrolled: 1-line block ×4, first 2 shown]
	s_waitcnt lgkmcnt(0)
	s_mul_i32 s13, s13, s9
	v_or_b32_e32 v11, 16, v5
	s_lshr_b32 s9, s13, 2
	s_add_u32 s2, s2, s6
	s_addc_u32 s3, s3, s7
	s_mul_i32 s7, s16, s8
	v_or_b32_e32 v12, 24, v5
	s_mul_i32 s7, s7, 44
	v_or_b32_e32 v13, 9, v5
	v_or_b32_e32 v14, 17, v5
	;; [unrolled: 1-line block ×9, first 2 shown]
	v_lshrrev_b32_e32 v24, 2, v1
	v_add3_u32 v1, s9, s7, v25
	v_add_nc_u32_e32 v25, 4, v26
	v_mov_b32_e32 v3, 0
	s_lshr_b32 s6, s11, 4
	s_mov_b32 s9, 0
	s_lshl_b32 s7, s6, 8
	s_mul_i32 s10, s6, 44
	s_branch .LBB27_6
.LBB27_3:                               ;   in Loop: Header=BB27_6 Depth=1
	s_or_b32 exec_lo, exec_lo, s18
.LBB27_4:                               ;   in Loop: Header=BB27_6 Depth=1
	s_delay_alu instid0(SALU_CYCLE_1)
	s_or_b32 exec_lo, exec_lo, s17
.LBB27_5:                               ;   in Loop: Header=BB27_6 Depth=1
	s_delay_alu instid0(SALU_CYCLE_1) | instskip(SKIP_2) | instid1(VALU_DEP_2)
	s_or_b32 exec_lo, exec_lo, s13
	v_add_nc_u32_e32 v2, 1, v1
	v_add_nc_u32_e32 v4, s6, v4
	v_lshlrev_b64 v[28:29], 2, v[2:3]
	v_add_nc_u32_e32 v2, 2, v1
	s_delay_alu instid0(VALU_DEP_1) | instskip(NEXT) | instid1(VALU_DEP_3)
	v_lshlrev_b64 v[30:31], 2, v[2:3]
	v_add_co_u32 v28, vcc_lo, s0, v28
	s_delay_alu instid0(VALU_DEP_4) | instskip(SKIP_1) | instid1(VALU_DEP_4)
	v_add_co_ci_u32_e32 v29, vcc_lo, s1, v29, vcc_lo
	v_add_nc_u32_e32 v2, 3, v1
	v_add_co_u32 v30, vcc_lo, s0, v30
	v_add_co_ci_u32_e32 v31, vcc_lo, s1, v31, vcc_lo
	s_delay_alu instid0(VALU_DEP_3)
	v_lshlrev_b64 v[32:33], 2, v[2:3]
	s_clause 0x1
	global_load_b32 v44, v[28:29], off
	global_load_b32 v45, v[30:31], off
	v_add_nc_u32_e32 v2, v25, v1
	v_add_nc_u32_e32 v30, v24, v1
	;; [unrolled: 1-line block ×3, first 2 shown]
	v_add_co_u32 v28, vcc_lo, s0, v32
	v_add_co_ci_u32_e32 v29, vcc_lo, s1, v33, vcc_lo
	global_load_b32 v46, v[28:29], off
	v_lshlrev_b64 v[28:29], 2, v[2:3]
	s_delay_alu instid0(VALU_DEP_1) | instskip(NEXT) | instid1(VALU_DEP_2)
	v_add_co_u32 v28, vcc_lo, s0, v28
	v_add_co_ci_u32_e32 v29, vcc_lo, s1, v29, vcc_lo
	global_load_b32 v47, v[28:29], off
	s_waitcnt vmcnt(2)
	v_lshrrev_b32_e32 v50, v6, v45
	v_bfe_u32 v45, v45, v6, 6
	s_delay_alu instid0(VALU_DEP_2) | instskip(NEXT) | instid1(VALU_DEP_2)
	v_bfe_u32 v53, v50, 8, 6
	v_cvt_f32_ubyte0_e32 v45, v45
	v_add_nc_u32_e32 v2, 12, v30
	v_lshrrev_b32_e32 v54, 2, v50
	v_lshrrev_b32_e32 v50, 10, v50
	v_cvt_f32_ubyte0_e32 v53, v53
	v_mul_f32_e32 v45, v27, v45
	v_lshlrev_b64 v[28:29], 2, v[2:3]
	v_add_nc_u32_e32 v2, 28, v30
	s_waitcnt vmcnt(1)
	v_lshrrev_b32_e32 v46, v6, v46
	v_mul_f32_e32 v53, v27, v53
	s_delay_alu instid0(VALU_DEP_4) | instskip(SKIP_1) | instid1(VALU_DEP_4)
	v_add_co_u32 v28, vcc_lo, s0, v28
	v_add_co_ci_u32_e32 v29, vcc_lo, s1, v29, vcc_lo
	v_lshrrev_b32_e32 v55, 4, v46
	v_lshrrev_b32_e32 v56, 8, v46
	global_load_b32 v48, v[28:29], off
	v_lshlrev_b64 v[28:29], 2, v[2:3]
	v_lshrrev_b32_e32 v2, 2, v23
	s_waitcnt vmcnt(1)
	v_lshrrev_b32_e32 v57, v5, v47
	v_lshrrev_b32_e32 v58, v10, v47
	;; [unrolled: 1-line block ×4, first 2 shown]
	v_add_co_u32 v28, vcc_lo, s0, v28
	v_add_co_ci_u32_e32 v29, vcc_lo, s1, v29, vcc_lo
	v_lshrrev_b32_e32 v60, v12, v47
	v_lshrrev_b32_e32 v62, v13, v47
	;; [unrolled: 1-line block ×3, first 2 shown]
	global_load_b32 v49, v[28:29], off
	v_lshlrev_b64 v[28:29], 4, v[2:3]
	v_bfe_u32 v2, v44, v6, 6
	v_lshrrev_b32_e32 v44, v6, v44
	v_lshrrev_b32_e32 v64, v15, v47
	;; [unrolled: 1-line block ×4, first 2 shown]
	v_add_co_u32 v40, vcc_lo, s2, v28
	v_add_co_ci_u32_e32 v41, vcc_lo, s3, v29, vcc_lo
	s_clause 0x3
	global_load_b128 v[28:31], v[40:41], off
	global_load_b128 v[32:35], v[40:41], off offset:128
	global_load_b128 v[36:39], v[40:41], off offset:512
	;; [unrolled: 1-line block ×3, first 2 shown]
	v_lshrrev_b32_e32 v52, 2, v44
	v_cvt_f32_ubyte0_e32 v2, v2
	v_bfe_u32 v51, v44, 8, 6
	v_lshrrev_b32_e32 v44, 10, v44
	v_and_b32_e32 v54, 48, v54
	v_and_b32_e32 v52, 48, v52
	;; [unrolled: 1-line block ×3, first 2 shown]
	v_mul_f32_e32 v2, v26, v2
	v_and_b32_e32 v44, 48, v44
	v_and_or_b32 v54, v55, 15, v54
	v_and_or_b32 v52, v46, 15, v52
	v_lshrrev_b32_e32 v46, 12, v46
	v_lshlrev_b32_e32 v55, 4, v57
	v_and_or_b32 v44, v56, 15, v44
	v_cvt_f32_ubyte0_e32 v54, v54
	v_cvt_f32_ubyte0_e32 v52, v52
	v_and_or_b32 v46, v46, 15, v50
	v_lshlrev_b32_e32 v57, 4, v58
	s_delay_alu instid0(VALU_DEP_4) | instskip(NEXT) | instid1(VALU_DEP_4)
	v_dual_mul_f32 v54, v27, v54 :: v_dual_lshlrev_b32 v59, 4, v59
	v_mul_f32_e32 v52, v26, v52
	s_delay_alu instid0(VALU_DEP_4)
	v_cvt_f32_ubyte0_e32 v46, v46
	v_cvt_f32_ubyte0_e32 v51, v51
	;; [unrolled: 1-line block ×3, first 2 shown]
	v_lshlrev_b32_e32 v61, 4, v61
	v_lshlrev_b32_e32 v62, 4, v62
	v_mul_f32_e32 v27, v27, v46
	v_mul_f32_e32 v51, v26, v51
	v_dual_mul_f32 v26, v26, v44 :: v_dual_lshlrev_b32 v63, 4, v63
	v_lshrrev_b32_e32 v67, v17, v47
	v_lshrrev_b32_e32 v68, v18, v47
	;; [unrolled: 1-line block ×6, first 2 shown]
	v_cmp_le_u32_e32 vcc_lo, s16, v4
	v_add_nc_u32_e32 v23, s7, v23
	s_or_b32 s9, vcc_lo, s9
	s_waitcnt vmcnt(5)
	v_and_b32_e32 v50, 15, v48
	v_lshrrev_b32_e32 v56, 8, v48
	v_lshrrev_b32_e32 v58, 16, v48
	;; [unrolled: 1-line block ×4, first 2 shown]
	v_and_or_b32 v50, v55, 16, v50
	v_and_b32_e32 v55, 16, v57
	v_and_b32_e32 v57, 16, v59
	v_lshrrev_b32_e32 v73, 4, v48
	v_lshrrev_b32_e32 v75, 20, v48
	v_cvt_f32_ubyte0_e32 v44, v50
	v_and_or_b32 v46, v56, 15, v55
	v_and_or_b32 v50, v58, 15, v57
	v_alignbit_b32 v48, v64, v48, 28
	s_waitcnt vmcnt(4)
	v_lshrrev_b32_e32 v78, 12, v49
	v_fma_f32 v44, v2, v44, -v45
	v_cvt_f32_ubyte0_e32 v46, v46
	v_cvt_f32_ubyte0_e32 v50, v50
	v_and_b32_e32 v48, 31, v48
	v_lshrrev_b32_e32 v76, 24, v49
	v_lshrrev_b32_e32 v77, 4, v49
	v_fma_f32 v46, v2, v46, -v45
	v_fma_f32 v50, v2, v50, -v45
	v_cvt_f32_ubyte0_e32 v48, v48
	v_lshrrev_b32_e32 v79, 20, v49
	v_alignbit_b32 v47, v47, v49, 28
	s_waitcnt vmcnt(3)
	v_mul_f32_e32 v29, v29, v46
	v_fma_f32 v48, v51, v48, -v53
	s_delay_alu instid0(VALU_DEP_3) | instskip(NEXT) | instid1(VALU_DEP_3)
	v_and_b32_e32 v47, 31, v47
	v_fmac_f32_e32 v29, v28, v44
	v_lshlrev_b32_e32 v60, 4, v60
	s_delay_alu instid0(VALU_DEP_3) | instskip(NEXT) | instid1(VALU_DEP_3)
	v_cvt_f32_ubyte0_e32 v47, v47
	v_fmac_f32_e32 v29, v30, v50
	s_delay_alu instid0(VALU_DEP_3) | instskip(SKIP_3) | instid1(VALU_DEP_4)
	v_and_b32_e32 v59, 16, v60
	v_and_b32_e32 v60, 16, v61
	;; [unrolled: 1-line block ×4, first 2 shown]
	v_and_or_b32 v55, v72, 15, v59
	s_delay_alu instid0(VALU_DEP_4) | instskip(NEXT) | instid1(VALU_DEP_4)
	v_and_or_b32 v56, v73, 15, v60
	v_and_or_b32 v57, v74, 15, v61
	s_delay_alu instid0(VALU_DEP_4) | instskip(NEXT) | instid1(VALU_DEP_4)
	v_and_or_b32 v58, v75, 15, v62
	v_cvt_f32_ubyte0_e32 v55, v55
	s_delay_alu instid0(VALU_DEP_4) | instskip(NEXT) | instid1(VALU_DEP_4)
	v_cvt_f32_ubyte0_e32 v56, v56
	v_cvt_f32_ubyte0_e32 v57, v57
	s_delay_alu instid0(VALU_DEP_4) | instskip(NEXT) | instid1(VALU_DEP_4)
	v_cvt_f32_ubyte0_e32 v58, v58
	v_fma_f32 v2, v2, v55, -v45
	s_delay_alu instid0(VALU_DEP_4) | instskip(NEXT) | instid1(VALU_DEP_4)
	v_fma_f32 v45, v51, v56, -v53
	v_fma_f32 v55, v51, v57, -v53
	s_delay_alu instid0(VALU_DEP_4) | instskip(NEXT) | instid1(VALU_DEP_4)
	v_fma_f32 v51, v51, v58, -v53
	v_dual_fmac_f32 v29, v31, v2 :: v_dual_lshlrev_b32 v64, 4, v65
	v_lshlrev_b32_e32 v65, 4, v66
	s_waitcnt vmcnt(2)
	v_dual_mul_f32 v33, v55, v33 :: v_dual_lshlrev_b32 v66, 4, v67
	s_delay_alu instid0(VALU_DEP_3) | instskip(NEXT) | instid1(VALU_DEP_2)
	v_dual_add_f32 v22, v22, v29 :: v_dual_lshlrev_b32 v67, 4, v68
	v_dual_fmac_f32 v33, v45, v32 :: v_dual_lshlrev_b32 v68, 4, v69
	v_and_b32_e32 v63, 16, v64
	v_lshrrev_b32_e32 v64, 8, v49
	v_and_b32_e32 v66, 16, v66
	s_delay_alu instid0(VALU_DEP_4) | instskip(SKIP_1) | instid1(VALU_DEP_2)
	v_dual_fmac_f32 v33, v51, v34 :: v_dual_and_b32 v68, 16, v68
	v_and_b32_e32 v67, 16, v67
	v_and_or_b32 v62, v77, 15, v68
	s_delay_alu instid0(VALU_DEP_3)
	v_fmac_f32_e32 v33, v48, v35
	v_lshlrev_b32_e32 v69, 4, v70
	v_lshlrev_b32_e32 v70, 4, v71
	v_lshrrev_b32_e32 v71, 16, v49
	v_and_or_b32 v49, v49, 15, v63
	v_cvt_f32_ubyte0_e32 v62, v62
	v_and_b32_e32 v69, 16, v69
	v_and_b32_e32 v70, 16, v70
	v_and_or_b32 v60, v71, 15, v66
	v_cvt_f32_ubyte0_e32 v49, v49
	v_fma_f32 v30, v26, v62, -v27
	v_and_or_b32 v63, v78, 15, v69
	v_and_or_b32 v61, v76, 15, v67
	v_cvt_f32_ubyte0_e32 v60, v60
	v_fma_f32 v46, v52, v49, -v54
	s_delay_alu instid0(VALU_DEP_4) | instskip(NEXT) | instid1(VALU_DEP_4)
	v_cvt_f32_ubyte0_e32 v63, v63
	v_cvt_f32_ubyte0_e32 v61, v61
	s_delay_alu instid0(VALU_DEP_4) | instskip(NEXT) | instid1(VALU_DEP_3)
	v_fma_f32 v53, v52, v60, -v54
	v_fma_f32 v44, v26, v63, -v27
	s_delay_alu instid0(VALU_DEP_3) | instskip(SKIP_1) | instid1(VALU_DEP_2)
	v_fma_f32 v28, v52, v61, -v54
	s_waitcnt vmcnt(0)
	v_mul_f32_e32 v32, v44, v41
	s_delay_alu instid0(VALU_DEP_1) | instskip(NEXT) | instid1(VALU_DEP_1)
	v_dual_fmac_f32 v32, v30, v40 :: v_dual_and_b32 v65, 16, v65
	v_and_or_b32 v59, v64, 15, v65
	v_and_or_b32 v64, v79, 15, v70
	s_delay_alu instid0(VALU_DEP_2) | instskip(NEXT) | instid1(VALU_DEP_2)
	v_cvt_f32_ubyte0_e32 v59, v59
	v_cvt_f32_ubyte0_e32 v64, v64
	s_delay_alu instid0(VALU_DEP_2) | instskip(NEXT) | instid1(VALU_DEP_2)
	v_fma_f32 v49, v52, v59, -v54
	v_fma_f32 v2, v26, v64, -v27
	;; [unrolled: 1-line block ×3, first 2 shown]
	s_delay_alu instid0(VALU_DEP_2) | instskip(SKIP_1) | instid1(VALU_DEP_2)
	v_dual_mul_f32 v37, v49, v37 :: v_dual_fmac_f32 v32, v2, v42
	v_add_f32_e32 v2, v22, v33
	v_fmac_f32_e32 v37, v46, v36
	s_delay_alu instid0(VALU_DEP_1) | instskip(NEXT) | instid1(VALU_DEP_1)
	v_dual_fmac_f32 v32, v26, v43 :: v_dual_fmac_f32 v37, v53, v38
	v_fmac_f32_e32 v37, v28, v39
	s_delay_alu instid0(VALU_DEP_1) | instskip(NEXT) | instid1(VALU_DEP_1)
	v_add_f32_e32 v2, v2, v37
	v_add_f32_e32 v22, v2, v32
	s_and_not1_b32 exec_lo, exec_lo, s9
	s_cbranch_execz .LBB27_26
.LBB27_6:                               ; =>This Inner Loop Header: Depth=1
	v_mov_b32_e32 v2, v3
	s_mov_b32 s13, exec_lo
	s_delay_alu instid0(VALU_DEP_1) | instskip(NEXT) | instid1(VALU_DEP_1)
	v_lshlrev_b64 v[26:27], 2, v[1:2]
	v_add_co_u32 v26, vcc_lo, s0, v26
	s_delay_alu instid0(VALU_DEP_2) | instskip(SKIP_4) | instid1(VALU_DEP_2)
	v_add_co_ci_u32_e32 v27, vcc_lo, s1, v27, vcc_lo
	global_load_b32 v2, v[26:27], off
	s_waitcnt vmcnt(0)
	v_bfe_u32 v27, v2, 15, 1
	v_bfe_u32 v28, v2, 10, 5
	v_lshlrev_b32_e32 v26, 31, v27
	s_delay_alu instid0(VALU_DEP_2)
	v_cmpx_lt_i32_e32 30, v28
	s_xor_b32 s13, exec_lo, s13
; %bb.7:                                ;   in Loop: Header=BB27_6 Depth=1
	v_and_b32_e32 v26, 0xffff, v2
	v_lshlrev_b32_e32 v27, 31, v27
                                        ; implicit-def: $vgpr28
	s_delay_alu instid0(VALU_DEP_2) | instskip(NEXT) | instid1(VALU_DEP_1)
	v_lshlrev_b32_e32 v26, 13, v26
	v_or3_b32 v26, v27, v26, 0x7f800000
                                        ; implicit-def: $vgpr27
; %bb.8:                                ;   in Loop: Header=BB27_6 Depth=1
	s_and_not1_saveexec_b32 s13, s13
	s_cbranch_execz .LBB27_16
; %bb.9:                                ;   in Loop: Header=BB27_6 Depth=1
	v_and_b32_e32 v29, 0x3ff, v2
	s_mov_b32 s17, exec_lo
	v_cmpx_ne_u32_e32 0, v28
	s_xor_b32 s17, exec_lo, s17
; %bb.10:                               ;   in Loop: Header=BB27_6 Depth=1
	v_lshlrev_b32_e32 v26, 31, v27
	v_lshlrev_b32_e32 v27, 23, v28
	;; [unrolled: 1-line block ×3, first 2 shown]
                                        ; implicit-def: $vgpr29
	s_delay_alu instid0(VALU_DEP_1) | instskip(NEXT) | instid1(VALU_DEP_1)
	v_or3_b32 v26, v27, v26, v28
                                        ; implicit-def: $vgpr27
	v_add_nc_u32_e32 v26, 0x38000000, v26
; %bb.11:                               ;   in Loop: Header=BB27_6 Depth=1
	s_and_not1_saveexec_b32 s17, s17
	s_cbranch_execz .LBB27_15
; %bb.12:                               ;   in Loop: Header=BB27_6 Depth=1
	s_mov_b32 s18, exec_lo
	v_cmpx_ne_u32_e32 0, v29
	s_xor_b32 s18, exec_lo, s18
; %bb.13:                               ;   in Loop: Header=BB27_6 Depth=1
	v_clz_i32_u32_e32 v26, v29
	v_lshlrev_b32_e32 v27, 31, v27
	s_delay_alu instid0(VALU_DEP_2) | instskip(SKIP_1) | instid1(VALU_DEP_2)
	v_xor_b32_e32 v28, 31, v26
	v_lshlrev_b32_e32 v26, 23, v26
	v_sub_nc_u32_e32 v28, 9, v28
	s_delay_alu instid0(VALU_DEP_1) | instskip(NEXT) | instid1(VALU_DEP_1)
	v_lshlrev_b32_e32 v28, v28, v2
	v_lshlrev_b32_e32 v28, 14, v28
	s_delay_alu instid0(VALU_DEP_1) | instskip(NEXT) | instid1(VALU_DEP_1)
	v_and_or_b32 v27, 0x7fc000, v28, v27
	v_sub_nc_u32_e32 v26, v27, v26
	s_delay_alu instid0(VALU_DEP_1)
	v_add_nc_u32_e32 v26, 0x43000000, v26
; %bb.14:                               ;   in Loop: Header=BB27_6 Depth=1
	s_and_not1_saveexec_b32 s18, s18
	s_delay_alu instid0(SALU_CYCLE_1)
	s_or_b32 exec_lo, exec_lo, s18
.LBB27_15:                              ;   in Loop: Header=BB27_6 Depth=1
	s_delay_alu instid0(SALU_CYCLE_1)
	s_or_b32 exec_lo, exec_lo, s17
.LBB27_16:                              ;   in Loop: Header=BB27_6 Depth=1
	s_delay_alu instid0(SALU_CYCLE_1) | instskip(SKIP_3) | instid1(VALU_DEP_2)
	s_or_b32 exec_lo, exec_lo, s13
	v_bfe_u32 v29, v2, 26, 5
	v_lshrrev_b32_e32 v28, 16, v2
	s_mov_b32 s13, exec_lo
                                        ; implicit-def: $vgpr27
	v_cmpx_lt_i32_e32 30, v29
	s_xor_b32 s13, exec_lo, s13
; %bb.17:                               ;   in Loop: Header=BB27_6 Depth=1
	v_and_b32_e32 v2, 0x80000000, v2
	v_lshlrev_b32_e32 v27, 13, v28
                                        ; implicit-def: $vgpr28
                                        ; implicit-def: $vgpr29
	s_delay_alu instid0(VALU_DEP_1)
	v_or3_b32 v27, v27, v2, 0x7f800000
                                        ; implicit-def: $vgpr2
; %bb.18:                               ;   in Loop: Header=BB27_6 Depth=1
	s_and_not1_saveexec_b32 s13, s13
	s_cbranch_execz .LBB27_5
; %bb.19:                               ;   in Loop: Header=BB27_6 Depth=1
	v_and_b32_e32 v30, 0x3ff, v28
	s_mov_b32 s17, exec_lo
                                        ; implicit-def: $vgpr27
	v_cmpx_ne_u32_e32 0, v29
	s_xor_b32 s17, exec_lo, s17
; %bb.20:                               ;   in Loop: Header=BB27_6 Depth=1
	v_and_b32_e32 v2, 0x80000000, v2
	v_lshlrev_b32_e32 v27, 23, v29
	v_lshlrev_b32_e32 v28, 13, v30
                                        ; implicit-def: $vgpr30
	s_delay_alu instid0(VALU_DEP_1) | instskip(NEXT) | instid1(VALU_DEP_1)
	v_or3_b32 v2, v27, v2, v28
                                        ; implicit-def: $vgpr28
	v_add_nc_u32_e32 v27, 0x38000000, v2
                                        ; implicit-def: $vgpr2
; %bb.21:                               ;   in Loop: Header=BB27_6 Depth=1
	s_and_not1_saveexec_b32 s17, s17
	s_cbranch_execz .LBB27_4
; %bb.22:                               ;   in Loop: Header=BB27_6 Depth=1
	s_mov_b32 s18, exec_lo
                                        ; implicit-def: $vgpr27
	v_cmpx_ne_u32_e32 0, v30
	s_xor_b32 s18, exec_lo, s18
; %bb.23:                               ;   in Loop: Header=BB27_6 Depth=1
	v_clz_i32_u32_e32 v27, v30
	s_delay_alu instid0(VALU_DEP_1) | instskip(SKIP_1) | instid1(VALU_DEP_2)
	v_xor_b32_e32 v29, 31, v27
	v_lshlrev_b32_e32 v27, 23, v27
	v_sub_nc_u32_e32 v29, 9, v29
	s_delay_alu instid0(VALU_DEP_1) | instskip(NEXT) | instid1(VALU_DEP_1)
	v_lshlrev_b32_e32 v28, v29, v28
	v_lshlrev_b32_e32 v28, 14, v28
	s_delay_alu instid0(VALU_DEP_1) | instskip(NEXT) | instid1(VALU_DEP_1)
	v_and_b32_e32 v28, 0x7fc000, v28
	v_and_or_b32 v2, 0x80000000, v2, v28
	s_delay_alu instid0(VALU_DEP_1) | instskip(NEXT) | instid1(VALU_DEP_1)
	v_sub_nc_u32_e32 v2, v2, v27
	v_add_nc_u32_e32 v27, 0x43000000, v2
                                        ; implicit-def: $vgpr2
; %bb.24:                               ;   in Loop: Header=BB27_6 Depth=1
	s_and_not1_saveexec_b32 s18, s18
	s_cbranch_execz .LBB27_3
; %bb.25:                               ;   in Loop: Header=BB27_6 Depth=1
	v_and_b32_e32 v27, 0x80000000, v2
	s_branch .LBB27_3
.LBB27_26:
	s_or_b32 exec_lo, exec_lo, s9
.LBB27_27:
	s_delay_alu instid0(SALU_CYCLE_1) | instskip(SKIP_2) | instid1(VALU_DEP_1)
	s_or_b32 exec_lo, exec_lo, s15
	v_mbcnt_lo_u32_b32 v5, -1, 0
	s_mov_b32 s0, exec_lo
	v_cmp_gt_u32_e32 vcc_lo, 16, v5
	v_cndmask_b32_e64 v1, 0, 1, vcc_lo
	v_cmp_gt_u32_e32 vcc_lo, 24, v5
	s_delay_alu instid0(VALU_DEP_2) | instskip(SKIP_2) | instid1(VALU_DEP_3)
	v_lshlrev_b32_e32 v1, 4, v1
	v_cndmask_b32_e64 v2, 0, 1, vcc_lo
	v_cmp_gt_u32_e32 vcc_lo, 28, v5
	v_add_lshl_u32 v1, v1, v5, 2
	s_delay_alu instid0(VALU_DEP_3)
	v_lshlrev_b32_e32 v2, 3, v2
	ds_bpermute_b32 v3, v1, v22
	v_add_lshl_u32 v2, v2, v5, 2
	s_waitcnt lgkmcnt(0)
	v_add_f32_e32 v4, v22, v3
	v_cndmask_b32_e64 v3, 0, 1, vcc_lo
	v_cmp_gt_u32_e32 vcc_lo, 30, v5
	ds_bpermute_b32 v6, v2, v4
	s_waitcnt lgkmcnt(0)
	v_dual_add_f32 v6, v4, v6 :: v_dual_lshlrev_b32 v3, 2, v3
	s_delay_alu instid0(VALU_DEP_1)
	v_add_lshl_u32 v3, v3, v5, 2
	v_cndmask_b32_e64 v4, 0, 1, vcc_lo
	v_cmp_ne_u32_e32 vcc_lo, 31, v5
	ds_bpermute_b32 v7, v3, v6
	v_lshlrev_b32_e32 v4, 1, v4
	v_add_co_ci_u32_e32 v8, vcc_lo, 0, v5, vcc_lo
	s_delay_alu instid0(VALU_DEP_2)
	v_add_lshl_u32 v4, v4, v5, 2
	s_waitcnt lgkmcnt(0)
	v_add_f32_e32 v6, v6, v7
	ds_bpermute_b32 v7, v4, v6
	s_waitcnt lgkmcnt(0)
	v_add_f32_e32 v5, v6, v7
	v_and_b32_e32 v7, 31, v0
	v_lshlrev_b32_e32 v6, 2, v8
	ds_bpermute_b32 v8, v6, v5
	v_cmpx_eq_u32_e32 0, v7
	s_cbranch_execz .LBB27_29
; %bb.28:
	s_waitcnt lgkmcnt(0)
	v_add_f32_e32 v5, v5, v8
	v_lshrrev_b32_e32 v8, 3, v0
	ds_store_b32 v8, v5
.LBB27_29:
	s_or_b32 exec_lo, exec_lo, s0
	s_add_i32 s11, s11, 31
	v_mov_b32_e32 v5, 0
	s_lshr_b32 s0, s11, 5
	s_waitcnt lgkmcnt(0)
	v_cmp_gt_u32_e32 vcc_lo, s0, v0
	s_barrier
	buffer_gl0_inv
	s_and_saveexec_b32 s0, vcc_lo
	s_cbranch_execz .LBB27_31
; %bb.30:
	v_lshlrev_b32_e32 v5, 2, v7
	ds_load_b32 v5, v5
.LBB27_31:
	s_or_b32 exec_lo, exec_lo, s0
	s_delay_alu instid0(SALU_CYCLE_1)
	s_mov_b32 s0, exec_lo
	v_cmpx_gt_u32_e32 32, v0
	s_cbranch_execz .LBB27_33
; %bb.32:
	s_waitcnt lgkmcnt(0)
	ds_bpermute_b32 v1, v1, v5
	s_waitcnt lgkmcnt(0)
	v_add_f32_e32 v1, v5, v1
	ds_bpermute_b32 v2, v2, v1
	s_waitcnt lgkmcnt(0)
	v_add_f32_e32 v1, v1, v2
	;; [unrolled: 3-line block ×5, first 2 shown]
.LBB27_33:
	s_or_b32 exec_lo, exec_lo, s0
	s_mov_b32 s9, 0
	s_mov_b32 s0, exec_lo
	v_cmpx_eq_u32_e32 0, v0
	s_cbranch_execz .LBB27_35
; %bb.34:
	s_mul_hi_u32 s1, s12, s14
	s_mul_i32 s0, s12, s14
	v_mov_b32_e32 v0, 0
	s_lshl_b64 s[0:1], s[0:1], 2
	s_delay_alu instid0(SALU_CYCLE_1) | instskip(SKIP_2) | instid1(SALU_CYCLE_1)
	s_add_u32 s2, s4, s0
	s_addc_u32 s3, s5, s1
	s_lshl_b64 s[0:1], s[8:9], 2
	s_add_u32 s0, s2, s0
	s_addc_u32 s1, s3, s1
	s_waitcnt lgkmcnt(0)
	global_store_b32 v0, v5, s[0:1]
.LBB27_35:
	s_nop 0
	s_sendmsg sendmsg(MSG_DEALLOC_VGPRS)
	s_endpgm
	.section	.rodata,"a",@progbits
	.p2align	6, 0x0
	.amdhsa_kernel dmmv_q5k_experts
		.amdhsa_group_segment_fixed_size 128
		.amdhsa_private_segment_fixed_size 0
		.amdhsa_kernarg_size 312
		.amdhsa_user_sgpr_count 15
		.amdhsa_user_sgpr_dispatch_ptr 0
		.amdhsa_user_sgpr_queue_ptr 0
		.amdhsa_user_sgpr_kernarg_segment_ptr 1
		.amdhsa_user_sgpr_dispatch_id 0
		.amdhsa_user_sgpr_private_segment_size 0
		.amdhsa_wavefront_size32 1
		.amdhsa_uses_dynamic_stack 0
		.amdhsa_enable_private_segment 0
		.amdhsa_system_sgpr_workgroup_id_x 1
		.amdhsa_system_sgpr_workgroup_id_y 0
		.amdhsa_system_sgpr_workgroup_id_z 0
		.amdhsa_system_sgpr_workgroup_info 0
		.amdhsa_system_vgpr_workitem_id 0
		.amdhsa_next_free_vgpr 80
		.amdhsa_next_free_sgpr 20
		.amdhsa_reserve_vcc 1
		.amdhsa_float_round_mode_32 0
		.amdhsa_float_round_mode_16_64 0
		.amdhsa_float_denorm_mode_32 3
		.amdhsa_float_denorm_mode_16_64 3
		.amdhsa_dx10_clamp 1
		.amdhsa_ieee_mode 1
		.amdhsa_fp16_overflow 0
		.amdhsa_workgroup_processor_mode 1
		.amdhsa_memory_ordered 1
		.amdhsa_forward_progress 0
		.amdhsa_shared_vgpr_count 0
		.amdhsa_exception_fp_ieee_invalid_op 0
		.amdhsa_exception_fp_denorm_src 0
		.amdhsa_exception_fp_ieee_div_zero 0
		.amdhsa_exception_fp_ieee_overflow 0
		.amdhsa_exception_fp_ieee_underflow 0
		.amdhsa_exception_fp_ieee_inexact 0
		.amdhsa_exception_int_div_zero 0
	.end_amdhsa_kernel
	.text
.Lfunc_end27:
	.size	dmmv_q5k_experts, .Lfunc_end27-dmmv_q5k_experts
                                        ; -- End function
	.section	.AMDGPU.csdata,"",@progbits
; Kernel info:
; codeLenInByte = 2744
; NumSgprs: 22
; NumVgprs: 80
; ScratchSize: 0
; MemoryBound: 0
; FloatMode: 240
; IeeeMode: 1
; LDSByteSize: 128 bytes/workgroup (compile time only)
; SGPRBlocks: 2
; VGPRBlocks: 9
; NumSGPRsForWavesPerEU: 22
; NumVGPRsForWavesPerEU: 80
; Occupancy: 16
; WaveLimiterHint : 1
; COMPUTE_PGM_RSRC2:SCRATCH_EN: 0
; COMPUTE_PGM_RSRC2:USER_SGPR: 15
; COMPUTE_PGM_RSRC2:TRAP_HANDLER: 0
; COMPUTE_PGM_RSRC2:TGID_X_EN: 1
; COMPUTE_PGM_RSRC2:TGID_Y_EN: 0
; COMPUTE_PGM_RSRC2:TGID_Z_EN: 0
; COMPUTE_PGM_RSRC2:TIDIG_COMP_CNT: 0
	.text
	.protected	dmmv_q5_1_experts       ; -- Begin function dmmv_q5_1_experts
	.globl	dmmv_q5_1_experts
	.p2align	8
	.type	dmmv_q5_1_experts,@function
dmmv_q5_1_experts:                      ; @dmmv_q5_1_experts
; %bb.0:
	s_clause 0x1
	s_load_b64 s[12:13], s[0:1], 0x20
	s_load_b32 s2, s[0:1], 0x30
	s_mov_b32 s17, 0
	s_waitcnt lgkmcnt(0)
	v_cvt_f32_u32_e32 v1, s12
	s_sub_i32 s4, 0, s12
	s_delay_alu instid0(VALU_DEP_1) | instskip(SKIP_2) | instid1(VALU_DEP_1)
	v_rcp_iflag_f32_e32 v1, v1
	s_waitcnt_depctr 0xfff
	v_mul_f32_e32 v1, 0x4f7ffffe, v1
	v_cvt_u32_f32_e32 v1, v1
	s_delay_alu instid0(VALU_DEP_1) | instskip(NEXT) | instid1(VALU_DEP_1)
	v_readfirstlane_b32 s3, v1
	s_mul_i32 s4, s4, s3
	s_delay_alu instid0(SALU_CYCLE_1) | instskip(NEXT) | instid1(SALU_CYCLE_1)
	s_mul_hi_u32 s4, s3, s4
	s_add_i32 s3, s3, s4
	s_delay_alu instid0(SALU_CYCLE_1) | instskip(NEXT) | instid1(SALU_CYCLE_1)
	s_mul_hi_u32 s3, s15, s3
	s_mul_i32 s4, s3, s12
	s_add_i32 s5, s3, 1
	s_sub_i32 s4, s15, s4
	s_delay_alu instid0(SALU_CYCLE_1)
	s_sub_i32 s6, s4, s12
	s_cmp_ge_u32 s4, s12
	s_cselect_b32 s3, s5, s3
	s_cselect_b32 s4, s6, s4
	s_add_i32 s5, s3, 1
	s_cmp_ge_u32 s4, s12
	s_cselect_b32 s16, s5, s3
	s_delay_alu instid0(SALU_CYCLE_1)
	s_cmp_ge_u32 s16, s2
	s_cbranch_scc1 .LBB28_37
; %bb.1:
	s_load_b256 s[4:11], s[0:1], 0x0
	v_mov_b32_e32 v5, 0
	s_mul_i32 s2, s16, s12
	s_mov_b32 s3, exec_lo
	s_sub_i32 s14, s15, s2
	s_mov_b32 s15, s17
	v_cmpx_gt_u32_e64 s13, v0
	s_cbranch_execz .LBB28_29
; %bb.2:
	s_lshl_b64 s[18:19], s[16:17], 2
	s_lshr_b32 s2, s13, 5
	s_waitcnt lgkmcnt(0)
	s_add_u32 s10, s10, s18
	s_addc_u32 s11, s11, s19
	s_load_b64 s[18:19], s[0:1], 0x28
	s_load_b32 s11, s[10:11], 0x0
	s_clause 0x1
	s_load_b32 s17, s[0:1], 0x34
	s_load_b32 s22, s[0:1], 0x44
	s_mul_i32 s2, s2, 24
	v_dual_mov_b32 v2, 0 :: v_dual_mov_b32 v5, 0
	s_mul_hi_u32 s23, s2, s14
	s_mul_i32 s2, s2, s14
	v_mov_b32_e32 v1, v0
	s_mov_b32 s10, 0
	s_waitcnt lgkmcnt(0)
	s_mul_hi_u32 s21, s19, s16
	s_mul_i32 s20, s19, s16
	s_mul_i32 s19, s11, s18
	s_mul_hi_u32 s11, s11, s18
	s_add_u32 s4, s4, s19
	s_addc_u32 s5, s5, s11
	s_add_u32 s4, s4, s17
	s_addc_u32 s5, s5, 0
	;; [unrolled: 2-line block ×3, first 2 shown]
	s_lshl_b64 s[18:19], s[20:21], 2
	s_delay_alu instid0(SALU_CYCLE_1)
	s_add_u32 s6, s6, s18
	s_addc_u32 s7, s7, s19
	s_and_b32 s11, s22, 0xffff
	s_branch .LBB28_4
.LBB28_3:                               ;   in Loop: Header=BB28_4 Depth=1
	s_or_b32 exec_lo, exec_lo, s2
	v_lshlrev_b64 v[3:4], 2, v[1:2]
	v_add_nc_u32_e32 v1, s11, v1
	s_delay_alu instid0(VALU_DEP_2) | instskip(NEXT) | instid1(VALU_DEP_3)
	v_add_co_u32 v3, vcc_lo, s6, v3
	v_add_co_ci_u32_e32 v4, vcc_lo, s7, v4, vcc_lo
	s_delay_alu instid0(VALU_DEP_3) | instskip(SKIP_4) | instid1(VALU_DEP_1)
	v_cmp_le_u32_e32 vcc_lo, s13, v1
	global_load_b32 v3, v[3:4], off
	s_waitcnt vmcnt(1)
	v_lshrrev_b32_e32 v4, v9, v8
	s_or_b32 s10, vcc_lo, s10
	v_lshlrev_b32_e32 v4, 4, v4
	s_delay_alu instid0(VALU_DEP_1) | instskip(NEXT) | instid1(VALU_DEP_1)
	v_and_or_b32 v4, v4, 16, v10
	v_cvt_f32_ubyte0_e32 v4, v4
	s_delay_alu instid0(VALU_DEP_1) | instskip(SKIP_1) | instid1(VALU_DEP_1)
	v_fmac_f32_e32 v7, v6, v4
	s_waitcnt vmcnt(0)
	v_fmac_f32_e32 v5, v3, v7
	s_and_not1_b32 exec_lo, exec_lo, s10
	s_cbranch_execz .LBB28_28
.LBB28_4:                               ; =>This Inner Loop Header: Depth=1
	v_lshrrev_b32_e32 v3, 5, v1
	s_mov_b32 s2, exec_lo
	s_delay_alu instid0(VALU_DEP_1) | instskip(SKIP_3) | instid1(VALU_DEP_1)
	v_mul_lo_u32 v3, v3, 24
	global_load_u16 v4, v3, s[4:5]
	s_waitcnt vmcnt(0)
	v_lshrrev_b16 v6, 8, v4
	v_and_b32_e32 v6, 0xffff, v6
	s_delay_alu instid0(VALU_DEP_1) | instskip(SKIP_2) | instid1(VALU_DEP_3)
	v_lshrrev_b32_e32 v7, 7, v6
	v_bfe_u32 v8, v6, 2, 5
	v_perm_b32 v4, v6, v4, 0x6050400
	v_lshlrev_b32_e32 v6, 31, v7
	s_delay_alu instid0(VALU_DEP_3)
	v_cmpx_lt_i32_e32 30, v8
	s_xor_b32 s2, exec_lo, s2
; %bb.5:                                ;   in Loop: Header=BB28_4 Depth=1
	v_lshlrev_b32_e32 v6, 31, v7
	v_lshlrev_b32_e32 v4, 13, v4
                                        ; implicit-def: $vgpr8
                                        ; implicit-def: $vgpr7
	s_delay_alu instid0(VALU_DEP_1)
	v_or3_b32 v6, v4, v6, 0x7f800000
                                        ; implicit-def: $vgpr4
; %bb.6:                                ;   in Loop: Header=BB28_4 Depth=1
	s_and_not1_saveexec_b32 s2, s2
	s_cbranch_execz .LBB28_14
; %bb.7:                                ;   in Loop: Header=BB28_4 Depth=1
	v_and_b32_e32 v9, 0x3ff, v4
	s_mov_b32 s17, exec_lo
	v_cmpx_ne_u32_e32 0, v8
	s_xor_b32 s17, exec_lo, s17
; %bb.8:                                ;   in Loop: Header=BB28_4 Depth=1
	v_lshlrev_b32_e32 v4, 31, v7
	v_lshlrev_b32_e32 v6, 23, v8
	v_lshlrev_b32_e32 v7, 13, v9
                                        ; implicit-def: $vgpr9
	s_delay_alu instid0(VALU_DEP_1) | instskip(NEXT) | instid1(VALU_DEP_1)
	v_or3_b32 v4, v6, v4, v7
                                        ; implicit-def: $vgpr7
	v_add_nc_u32_e32 v6, 0x38000000, v4
                                        ; implicit-def: $vgpr4
; %bb.9:                                ;   in Loop: Header=BB28_4 Depth=1
	s_and_not1_saveexec_b32 s17, s17
	s_cbranch_execz .LBB28_13
; %bb.10:                               ;   in Loop: Header=BB28_4 Depth=1
	s_mov_b32 s18, exec_lo
	v_cmpx_ne_u32_e32 0, v9
	s_xor_b32 s18, exec_lo, s18
; %bb.11:                               ;   in Loop: Header=BB28_4 Depth=1
	v_clz_i32_u32_e32 v6, v9
	v_lshlrev_b32_e32 v7, 31, v7
	s_delay_alu instid0(VALU_DEP_2) | instskip(SKIP_1) | instid1(VALU_DEP_2)
	v_xor_b32_e32 v8, 31, v6
	v_lshlrev_b32_e32 v6, 23, v6
	v_sub_nc_u32_e32 v8, 9, v8
	s_delay_alu instid0(VALU_DEP_1) | instskip(NEXT) | instid1(VALU_DEP_1)
	v_lshlrev_b32_e32 v4, v8, v4
	v_lshlrev_b32_e32 v4, 14, v4
	s_delay_alu instid0(VALU_DEP_1) | instskip(NEXT) | instid1(VALU_DEP_1)
	v_and_or_b32 v4, 0x7fc000, v4, v7
	v_sub_nc_u32_e32 v4, v4, v6
	s_delay_alu instid0(VALU_DEP_1)
	v_add_nc_u32_e32 v6, 0x43000000, v4
; %bb.12:                               ;   in Loop: Header=BB28_4 Depth=1
	s_and_not1_saveexec_b32 s18, s18
	s_delay_alu instid0(SALU_CYCLE_1)
	s_or_b32 exec_lo, exec_lo, s18
.LBB28_13:                              ;   in Loop: Header=BB28_4 Depth=1
	s_delay_alu instid0(SALU_CYCLE_1)
	s_or_b32 exec_lo, exec_lo, s17
.LBB28_14:                              ;   in Loop: Header=BB28_4 Depth=1
	s_delay_alu instid0(SALU_CYCLE_1) | instskip(SKIP_1) | instid1(VALU_DEP_1)
	s_or_b32 exec_lo, exec_lo, s2
	v_add_co_u32 v3, s2, s4, v3
	v_add_co_ci_u32_e64 v4, null, s5, 0, s2
	s_mov_b32 s2, exec_lo
	global_load_u16 v7, v[3:4], off offset:2
	s_waitcnt vmcnt(0)
	v_lshrrev_b16 v8, 8, v7
	s_delay_alu instid0(VALU_DEP_1) | instskip(NEXT) | instid1(VALU_DEP_1)
	v_and_b32_e32 v8, 0xffff, v8
	v_lshrrev_b32_e32 v9, 7, v8
	v_bfe_u32 v10, v8, 2, 5
	v_perm_b32 v8, v8, v7, 0x6050400
	s_delay_alu instid0(VALU_DEP_3) | instskip(NEXT) | instid1(VALU_DEP_3)
	v_lshlrev_b32_e32 v7, 31, v9
	v_cmpx_lt_i32_e32 30, v10
	s_xor_b32 s2, exec_lo, s2
; %bb.15:                               ;   in Loop: Header=BB28_4 Depth=1
	v_lshlrev_b32_e32 v7, 31, v9
	v_lshlrev_b32_e32 v8, 13, v8
                                        ; implicit-def: $vgpr10
                                        ; implicit-def: $vgpr9
	s_delay_alu instid0(VALU_DEP_1)
	v_or3_b32 v7, v8, v7, 0x7f800000
                                        ; implicit-def: $vgpr8
; %bb.16:                               ;   in Loop: Header=BB28_4 Depth=1
	s_and_not1_saveexec_b32 s2, s2
	s_cbranch_execz .LBB28_24
; %bb.17:                               ;   in Loop: Header=BB28_4 Depth=1
	v_and_b32_e32 v11, 0x3ff, v8
	s_mov_b32 s17, exec_lo
	v_cmpx_ne_u32_e32 0, v10
	s_xor_b32 s17, exec_lo, s17
; %bb.18:                               ;   in Loop: Header=BB28_4 Depth=1
	v_lshlrev_b32_e32 v7, 31, v9
	v_lshlrev_b32_e32 v8, 23, v10
	;; [unrolled: 1-line block ×3, first 2 shown]
                                        ; implicit-def: $vgpr11
	s_delay_alu instid0(VALU_DEP_1) | instskip(NEXT) | instid1(VALU_DEP_1)
	v_or3_b32 v7, v8, v7, v9
                                        ; implicit-def: $vgpr8
                                        ; implicit-def: $vgpr9
	v_add_nc_u32_e32 v7, 0x38000000, v7
; %bb.19:                               ;   in Loop: Header=BB28_4 Depth=1
	s_and_not1_saveexec_b32 s17, s17
	s_cbranch_execz .LBB28_23
; %bb.20:                               ;   in Loop: Header=BB28_4 Depth=1
	s_mov_b32 s18, exec_lo
	v_cmpx_ne_u32_e32 0, v11
	s_xor_b32 s18, exec_lo, s18
; %bb.21:                               ;   in Loop: Header=BB28_4 Depth=1
	v_clz_i32_u32_e32 v7, v11
	v_lshlrev_b32_e32 v9, 31, v9
	s_delay_alu instid0(VALU_DEP_2) | instskip(SKIP_1) | instid1(VALU_DEP_2)
	v_xor_b32_e32 v10, 31, v7
	v_lshlrev_b32_e32 v7, 23, v7
	v_sub_nc_u32_e32 v10, 9, v10
	s_delay_alu instid0(VALU_DEP_1) | instskip(NEXT) | instid1(VALU_DEP_1)
	v_lshlrev_b32_e32 v8, v10, v8
	v_lshlrev_b32_e32 v8, 14, v8
	s_delay_alu instid0(VALU_DEP_1) | instskip(NEXT) | instid1(VALU_DEP_1)
	v_and_or_b32 v8, 0x7fc000, v8, v9
	v_sub_nc_u32_e32 v7, v8, v7
	s_delay_alu instid0(VALU_DEP_1)
	v_add_nc_u32_e32 v7, 0x43000000, v7
; %bb.22:                               ;   in Loop: Header=BB28_4 Depth=1
	s_and_not1_saveexec_b32 s18, s18
	s_delay_alu instid0(SALU_CYCLE_1)
	s_or_b32 exec_lo, exec_lo, s18
.LBB28_23:                              ;   in Loop: Header=BB28_4 Depth=1
	s_delay_alu instid0(SALU_CYCLE_1)
	s_or_b32 exec_lo, exec_lo, s17
.LBB28_24:                              ;   in Loop: Header=BB28_4 Depth=1
	s_delay_alu instid0(SALU_CYCLE_1) | instskip(SKIP_2) | instid1(VALU_DEP_1)
	s_or_b32 exec_lo, exec_lo, s2
	global_load_b32 v8, v[3:4], off offset:4
	v_and_b32_e32 v9, 31, v1
                                        ; implicit-def: $vgpr10
	v_add_co_u32 v3, s2, v3, v9
	s_delay_alu instid0(VALU_DEP_1)
	v_add_co_ci_u32_e64 v4, s2, 0, v4, s2
	s_mov_b32 s2, exec_lo
	v_cmpx_lt_u32_e32 15, v9
	s_xor_b32 s2, exec_lo, s2
	s_cbranch_execz .LBB28_26
; %bb.25:                               ;   in Loop: Header=BB28_4 Depth=1
	global_load_u8 v3, v[3:4], off offset:-8
	s_waitcnt vmcnt(0)
	v_lshrrev_b16 v10, 4, v3
                                        ; implicit-def: $vgpr3_vgpr4
.LBB28_26:                              ;   in Loop: Header=BB28_4 Depth=1
	s_and_not1_saveexec_b32 s2, s2
	s_cbranch_execz .LBB28_3
; %bb.27:                               ;   in Loop: Header=BB28_4 Depth=1
	global_load_u8 v3, v[3:4], off offset:8
	s_waitcnt vmcnt(0)
	v_and_b32_e32 v10, 15, v3
	s_branch .LBB28_3
.LBB28_28:
	s_or_b32 exec_lo, exec_lo, s10
.LBB28_29:
	s_delay_alu instid0(SALU_CYCLE_1) | instskip(SKIP_2) | instid1(VALU_DEP_1)
	s_or_b32 exec_lo, exec_lo, s3
	v_mbcnt_lo_u32_b32 v6, -1, 0
	s_mov_b32 s2, exec_lo
	v_cmp_gt_u32_e32 vcc_lo, 16, v6
	v_cndmask_b32_e64 v1, 0, 1, vcc_lo
	v_cmp_gt_u32_e32 vcc_lo, 24, v6
	s_delay_alu instid0(VALU_DEP_2) | instskip(SKIP_2) | instid1(VALU_DEP_3)
	v_lshlrev_b32_e32 v1, 4, v1
	v_cndmask_b32_e64 v2, 0, 1, vcc_lo
	v_cmp_gt_u32_e32 vcc_lo, 28, v6
	v_add_lshl_u32 v1, v1, v6, 2
	ds_bpermute_b32 v3, v1, v5
	s_waitcnt lgkmcnt(0)
	v_add_f32_e32 v4, v5, v3
	v_lshlrev_b32_e32 v2, 3, v2
	v_cndmask_b32_e64 v3, 0, 1, vcc_lo
	v_cmp_gt_u32_e32 vcc_lo, 30, v6
	s_delay_alu instid0(VALU_DEP_3) | instskip(NEXT) | instid1(VALU_DEP_3)
	v_add_lshl_u32 v2, v2, v6, 2
	v_lshlrev_b32_e32 v3, 2, v3
	ds_bpermute_b32 v5, v2, v4
	v_add_lshl_u32 v3, v3, v6, 2
	s_waitcnt lgkmcnt(0)
	v_add_f32_e32 v5, v4, v5
	v_cndmask_b32_e64 v4, 0, 1, vcc_lo
	v_cmp_ne_u32_e32 vcc_lo, 31, v6
	ds_bpermute_b32 v7, v3, v5
	v_lshlrev_b32_e32 v4, 1, v4
	v_add_co_ci_u32_e32 v8, vcc_lo, 0, v6, vcc_lo
	s_waitcnt lgkmcnt(0)
	v_add_f32_e32 v5, v5, v7
	s_delay_alu instid0(VALU_DEP_3)
	v_add_lshl_u32 v4, v4, v6, 2
	ds_bpermute_b32 v7, v4, v5
	s_waitcnt lgkmcnt(0)
	v_dual_add_f32 v6, v5, v7 :: v_dual_lshlrev_b32 v5, 2, v8
	v_and_b32_e32 v7, 31, v0
	ds_bpermute_b32 v8, v5, v6
	v_cmpx_eq_u32_e32 0, v7
	s_cbranch_execz .LBB28_31
; %bb.30:
	s_waitcnt lgkmcnt(0)
	v_add_f32_e32 v6, v6, v8
	v_lshrrev_b32_e32 v8, 3, v0
	ds_store_b32 v8, v6
.LBB28_31:
	s_or_b32 exec_lo, exec_lo, s2
	s_waitcnt lgkmcnt(0)
	s_barrier
	buffer_gl0_inv
	s_load_b32 s0, s[0:1], 0x44
	v_mov_b32_e32 v6, 0
	s_waitcnt lgkmcnt(0)
	s_and_b32 s0, s0, 0xffff
	s_delay_alu instid0(SALU_CYCLE_1) | instskip(NEXT) | instid1(SALU_CYCLE_1)
	s_add_i32 s0, s0, 31
	s_lshr_b32 s0, s0, 5
	s_delay_alu instid0(SALU_CYCLE_1)
	v_cmp_gt_u32_e32 vcc_lo, s0, v0
	s_and_saveexec_b32 s0, vcc_lo
	s_cbranch_execz .LBB28_33
; %bb.32:
	v_lshlrev_b32_e32 v6, 2, v7
	ds_load_b32 v6, v6
.LBB28_33:
	s_or_b32 exec_lo, exec_lo, s0
	s_delay_alu instid0(SALU_CYCLE_1)
	s_mov_b32 s0, exec_lo
	v_cmpx_gt_u32_e32 32, v0
	s_cbranch_execz .LBB28_35
; %bb.34:
	s_waitcnt lgkmcnt(0)
	ds_bpermute_b32 v1, v1, v6
	s_waitcnt lgkmcnt(0)
	v_add_f32_e32 v1, v6, v1
	ds_bpermute_b32 v2, v2, v1
	s_waitcnt lgkmcnt(0)
	v_add_f32_e32 v1, v1, v2
	;; [unrolled: 3-line block ×5, first 2 shown]
.LBB28_35:
	s_or_b32 exec_lo, exec_lo, s0
	s_delay_alu instid0(SALU_CYCLE_1)
	s_mov_b32 s0, exec_lo
	v_cmpx_eq_u32_e32 0, v0
	s_cbranch_execz .LBB28_37
; %bb.36:
	s_mul_hi_u32 s1, s16, s12
	s_mul_i32 s0, s16, s12
	v_mov_b32_e32 v0, 0
	s_lshl_b64 s[0:1], s[0:1], 2
	s_delay_alu instid0(SALU_CYCLE_1) | instskip(SKIP_2) | instid1(SALU_CYCLE_1)
	s_add_u32 s2, s8, s0
	s_addc_u32 s3, s9, s1
	s_lshl_b64 s[0:1], s[14:15], 2
	s_add_u32 s0, s2, s0
	s_addc_u32 s1, s3, s1
	s_waitcnt lgkmcnt(0)
	global_store_b32 v0, v6, s[0:1]
.LBB28_37:
	s_nop 0
	s_sendmsg sendmsg(MSG_DEALLOC_VGPRS)
	s_endpgm
	.section	.rodata,"a",@progbits
	.p2align	6, 0x0
	.amdhsa_kernel dmmv_q5_1_experts
		.amdhsa_group_segment_fixed_size 128
		.amdhsa_private_segment_fixed_size 0
		.amdhsa_kernarg_size 312
		.amdhsa_user_sgpr_count 15
		.amdhsa_user_sgpr_dispatch_ptr 0
		.amdhsa_user_sgpr_queue_ptr 0
		.amdhsa_user_sgpr_kernarg_segment_ptr 1
		.amdhsa_user_sgpr_dispatch_id 0
		.amdhsa_user_sgpr_private_segment_size 0
		.amdhsa_wavefront_size32 1
		.amdhsa_uses_dynamic_stack 0
		.amdhsa_enable_private_segment 0
		.amdhsa_system_sgpr_workgroup_id_x 1
		.amdhsa_system_sgpr_workgroup_id_y 0
		.amdhsa_system_sgpr_workgroup_id_z 0
		.amdhsa_system_sgpr_workgroup_info 0
		.amdhsa_system_vgpr_workitem_id 0
		.amdhsa_next_free_vgpr 12
		.amdhsa_next_free_sgpr 24
		.amdhsa_reserve_vcc 1
		.amdhsa_float_round_mode_32 0
		.amdhsa_float_round_mode_16_64 0
		.amdhsa_float_denorm_mode_32 3
		.amdhsa_float_denorm_mode_16_64 3
		.amdhsa_dx10_clamp 1
		.amdhsa_ieee_mode 1
		.amdhsa_fp16_overflow 0
		.amdhsa_workgroup_processor_mode 1
		.amdhsa_memory_ordered 1
		.amdhsa_forward_progress 0
		.amdhsa_shared_vgpr_count 0
		.amdhsa_exception_fp_ieee_invalid_op 0
		.amdhsa_exception_fp_denorm_src 0
		.amdhsa_exception_fp_ieee_div_zero 0
		.amdhsa_exception_fp_ieee_overflow 0
		.amdhsa_exception_fp_ieee_underflow 0
		.amdhsa_exception_fp_ieee_inexact 0
		.amdhsa_exception_int_div_zero 0
	.end_amdhsa_kernel
	.text
.Lfunc_end28:
	.size	dmmv_q5_1_experts, .Lfunc_end28-dmmv_q5_1_experts
                                        ; -- End function
	.section	.AMDGPU.csdata,"",@progbits
; Kernel info:
; codeLenInByte = 1648
; NumSgprs: 26
; NumVgprs: 12
; ScratchSize: 0
; MemoryBound: 0
; FloatMode: 240
; IeeeMode: 1
; LDSByteSize: 128 bytes/workgroup (compile time only)
; SGPRBlocks: 3
; VGPRBlocks: 1
; NumSGPRsForWavesPerEU: 26
; NumVGPRsForWavesPerEU: 12
; Occupancy: 16
; WaveLimiterHint : 1
; COMPUTE_PGM_RSRC2:SCRATCH_EN: 0
; COMPUTE_PGM_RSRC2:USER_SGPR: 15
; COMPUTE_PGM_RSRC2:TRAP_HANDLER: 0
; COMPUTE_PGM_RSRC2:TGID_X_EN: 1
; COMPUTE_PGM_RSRC2:TGID_Y_EN: 0
; COMPUTE_PGM_RSRC2:TGID_Z_EN: 0
; COMPUTE_PGM_RSRC2:TIDIG_COMP_CNT: 0
	.text
	.protected	dmmv_q8_0_fast          ; -- Begin function dmmv_q8_0_fast
	.globl	dmmv_q8_0_fast
	.p2align	8
	.type	dmmv_q8_0_fast,@function
dmmv_q8_0_fast:                         ; @dmmv_q8_0_fast
; %bb.0:
	s_load_b32 s2, s[0:1], 0x18
	s_add_u32 s8, s0, 24
	s_addc_u32 s9, s1, 0
	s_waitcnt lgkmcnt(0)
	s_cmp_ge_u32 s15, s2
	s_cbranch_scc1 .LBB29_25
; %bb.1:
	s_clause 0x3
	s_load_b64 s[2:3], s[0:1], 0x1c
	s_load_b64 s[10:11], s[0:1], 0x10
	s_load_b128 s[4:7], s[0:1], 0x0
	s_load_b64 s[8:9], s[8:9], 0x10
	v_mov_b32_e32 v5, 0
	s_mov_b32 s12, exec_lo
	s_waitcnt lgkmcnt(0)
	s_lshr_b32 s13, s2, 5
	s_delay_alu instid0(SALU_CYCLE_1)
	v_cmpx_gt_u32_e64 s13, v0
	s_cbranch_execz .LBB29_15
; %bb.2:
	s_clause 0x1
	s_load_b32 s2, s[0:1], 0x3c
	s_load_b32 s14, s[0:1], 0x24
	s_mov_b32 s16, s3
	s_mul_i32 s3, s15, s13
	s_mul_hi_u32 s17, s15, s13
	s_mul_hi_u32 s18, s3, 34
	s_mul_i32 s17, s17, 34
	s_mul_i32 s19, s3, 34
	s_add_i32 s18, s18, s17
	v_dual_mov_b32 v6, v0 :: v_dual_lshlrev_b32 v3, 7, v0
	v_mov_b32_e32 v5, 0
	s_waitcnt lgkmcnt(0)
	s_and_b32 s3, s2, 0xffff
	s_add_u32 s2, s4, s16
	s_addc_u32 s5, s5, 0
	s_add_u32 s4, s2, s19
	s_addc_u32 s5, s5, s18
	s_and_b32 s2, s14, -4
	v_mad_u64_u32 v[1:2], null, v0, 34, s[4:5]
	s_add_u32 s2, s6, s2
	s_addc_u32 s4, s7, 0
	v_add_co_u32 v3, s2, s2, v3
	s_delay_alu instid0(VALU_DEP_1) | instskip(NEXT) | instid1(VALU_DEP_3)
	v_add_co_ci_u32_e64 v4, null, s4, 0, s2
	v_add_co_u32 v1, vcc_lo, v1, 33
	s_delay_alu instid0(VALU_DEP_4) | instskip(NEXT) | instid1(VALU_DEP_4)
	v_add_co_ci_u32_e32 v2, vcc_lo, 0, v2, vcc_lo
	v_add_co_u32 v3, vcc_lo, v3, 64
	s_delay_alu instid0(VALU_DEP_4)
	v_add_co_ci_u32_e32 v4, vcc_lo, 0, v4, vcc_lo
	s_mov_b32 s4, 0
	s_mul_i32 s5, s3, 34
	s_lshl_b32 s6, s3, 7
	s_branch .LBB29_6
.LBB29_3:                               ;   in Loop: Header=BB29_6 Depth=1
	s_and_not1_saveexec_b32 s14, s14
	s_delay_alu instid0(SALU_CYCLE_1)
	s_or_b32 exec_lo, exec_lo, s14
.LBB29_4:                               ;   in Loop: Header=BB29_6 Depth=1
	s_delay_alu instid0(SALU_CYCLE_1)
	s_or_b32 exec_lo, exec_lo, s7
.LBB29_5:                               ;   in Loop: Header=BB29_6 Depth=1
	s_delay_alu instid0(SALU_CYCLE_1)
	s_or_b32 exec_lo, exec_lo, s2
	s_clause 0x1
	global_load_b128 v[8:11], v[1:2], off offset:-31
	global_load_b128 v[12:15], v[1:2], off offset:-15
	s_clause 0x7
	global_load_b128 v[16:19], v[3:4], off offset:-64
	global_load_b128 v[20:23], v[3:4], off offset:-48
	;; [unrolled: 1-line block ×4, first 2 shown]
	global_load_b128 v[32:35], v[3:4], off
	global_load_b128 v[36:39], v[3:4], off offset:16
	global_load_b128 v[40:43], v[3:4], off offset:32
	;; [unrolled: 1-line block ×3, first 2 shown]
	v_add_co_u32 v1, vcc_lo, v1, s5
	v_add_co_ci_u32_e32 v2, vcc_lo, 0, v2, vcc_lo
	v_add_co_u32 v3, s2, v3, s6
	s_delay_alu instid0(VALU_DEP_1) | instskip(SKIP_1) | instid1(VALU_DEP_1)
	v_add_co_ci_u32_e64 v4, s2, 0, v4, s2
	v_add_nc_u32_e32 v6, s3, v6
	v_cmp_le_u32_e32 vcc_lo, s13, v6
	s_or_b32 s4, vcc_lo, s4
	s_waitcnt vmcnt(9)
	v_lshrrev_b32_e32 v49, 8, v8
	v_lshrrev_b32_e32 v52, 8, v9
	v_bfe_i32 v48, v8, 0, 8
	v_lshrrev_b32_e32 v50, 16, v8
	v_lshrrev_b32_e32 v58, 8, v11
	v_bfe_i32 v49, v49, 0, 8
	s_waitcnt vmcnt(8)
	v_bfe_i32 v60, v12, 0, 8
	v_bfe_i32 v52, v52, 0, 8
	v_lshrrev_b32_e32 v8, 24, v8
	v_bfe_i32 v51, v9, 0, 8
	v_bfe_i32 v49, v49, 0, 16
	;; [unrolled: 1-line block ×3, first 2 shown]
	v_lshrrev_b32_e32 v61, 8, v12
	v_lshrrev_b32_e32 v65, 16, v13
	;; [unrolled: 1-line block ×3, first 2 shown]
	v_bfe_i32 v50, v50, 0, 8
	v_bfe_i32 v58, v58, 0, 8
	;; [unrolled: 1-line block ×5, first 2 shown]
	v_cvt_f32_i32_e32 v49, v49
	v_lshrrev_b32_e32 v55, 8, v10
	v_bfe_i32 v8, v8, 0, 8
	v_bfe_i32 v51, v51, 0, 16
	;; [unrolled: 1-line block ×6, first 2 shown]
	v_cvt_f32_i32_e32 v48, v48
	v_bfe_i32 v50, v50, 0, 16
	v_bfe_i32 v58, v58, 0, 16
	v_cvt_f32_i32_e32 v60, v60
	v_cvt_f32_i32_e32 v52, v52
	s_waitcnt vmcnt(7)
	v_mul_f32_e32 v17, v17, v49
	v_lshrrev_b32_e32 v62, 16, v12
	v_bfe_i32 v66, v14, 0, 8
	v_bfe_i32 v55, v55, 0, 8
	;; [unrolled: 1-line block ×3, first 2 shown]
	v_cvt_f32_i32_e32 v51, v51
	v_cvt_f32_i32_e32 v57, v57
	v_bfe_i32 v61, v61, 0, 16
	v_bfe_i32 v65, v65, 0, 16
	;; [unrolled: 1-line block ×3, first 2 shown]
	v_cvt_f32_i32_e32 v50, v50
	v_cvt_f32_i32_e32 v58, v58
	s_waitcnt vmcnt(6)
	v_mul_f32_e32 v21, v21, v52
	v_fmac_f32_e32 v17, v16, v48
	v_bfe_i32 v54, v10, 0, 8
	v_lshrrev_b32_e32 v56, 16, v10
	v_lshrrev_b32_e32 v59, 16, v11
	v_bfe_i32 v62, v62, 0, 8
	v_bfe_i32 v66, v66, 0, 16
	;; [unrolled: 1-line block ×3, first 2 shown]
	v_cvt_f32_i32_e32 v8, v8
	v_cvt_f32_i32_e32 v61, v61
	;; [unrolled: 1-line block ×4, first 2 shown]
	s_waitcnt vmcnt(4)
	v_dual_fmac_f32 v21, v20, v51 :: v_dual_mul_f32 v20, v29, v58
	v_fmac_f32_e32 v17, v18, v50
	v_lshrrev_b32_e32 v53, 16, v9
	v_lshrrev_b32_e32 v10, 24, v10
	;; [unrolled: 1-line block ×4, first 2 shown]
	v_bfe_i32 v56, v56, 0, 8
	v_bfe_i32 v59, v59, 0, 8
	;; [unrolled: 1-line block ×4, first 2 shown]
	v_cvt_f32_i32_e32 v66, v66
	v_cvt_f32_i32_e32 v55, v55
	s_waitcnt vmcnt(3)
	v_dual_fmac_f32 v17, v19, v8 :: v_dual_mul_f32 v8, v33, v61
	v_lshrrev_b32_e32 v9, 24, v9
	v_lshrrev_b32_e32 v11, 24, v11
	v_bfe_i32 v53, v53, 0, 8
	v_bfe_i32 v10, v10, 0, 8
	;; [unrolled: 1-line block ×3, first 2 shown]
	v_cvt_f32_i32_e32 v54, v54
	v_bfe_i32 v56, v56, 0, 16
	v_bfe_i32 v59, v59, 0, 16
	v_cvt_f32_i32_e32 v62, v62
	v_dual_fmac_f32 v8, v32, v60 :: v_dual_mul_f32 v25, v25, v55
	v_lshrrev_b32_e32 v12, 24, v12
	v_lshrrev_b32_e32 v64, 8, v13
	v_bfe_i32 v9, v9, 0, 8
	s_delay_alu instid0(VALU_DEP_4)
	v_fmac_f32_e32 v8, v34, v62
	v_bfe_i32 v11, v11, 0, 8
	v_bfe_i32 v53, v53, 0, 16
	;; [unrolled: 1-line block ×4, first 2 shown]
	v_cvt_f32_i32_e32 v56, v56
	v_cvt_f32_i32_e32 v59, v59
	v_fmac_f32_e32 v20, v28, v57
	v_fmac_f32_e32 v25, v24, v54
	v_bfe_i32 v12, v12, 0, 8
	v_bfe_i32 v64, v64, 0, 8
	;; [unrolled: 1-line block ×3, first 2 shown]
	v_fmac_f32_e32 v20, v30, v59
	v_bfe_i32 v9, v9, 0, 16
	v_bfe_i32 v11, v11, 0, 16
	v_cvt_f32_i32_e32 v53, v53
	v_cvt_f32_i32_e32 v10, v10
	;; [unrolled: 1-line block ×3, first 2 shown]
	v_fmac_f32_e32 v25, v26, v56
	v_bfe_i32 v63, v13, 0, 8
	v_lshrrev_b32_e32 v70, 8, v15
	v_bfe_i32 v12, v12, 0, 16
	v_bfe_i32 v64, v64, 0, 16
	;; [unrolled: 1-line block ×3, first 2 shown]
	v_cvt_f32_i32_e32 v9, v9
	v_cvt_f32_i32_e32 v11, v11
	v_fmac_f32_e32 v21, v22, v53
	s_waitcnt vmcnt(1)
	v_dual_fmac_f32 v25, v27, v10 :: v_dual_mul_f32 v10, v41, v65
	v_lshrrev_b32_e32 v13, 24, v13
	v_fmac_f32_e32 v20, v31, v11
	v_bfe_i32 v70, v70, 0, 8
	v_bfe_i32 v63, v63, 0, 16
	v_cvt_f32_i32_e32 v12, v12
	v_cvt_f32_i32_e32 v64, v64
	;; [unrolled: 1-line block ×3, first 2 shown]
	v_dual_fmac_f32 v10, v40, v66 :: v_dual_fmac_f32 v21, v23, v9
	s_delay_alu instid0(VALU_DEP_4)
	v_dual_fmac_f32 v5, v17, v7 :: v_dual_fmac_f32 v8, v35, v12
	v_bfe_i32 v69, v15, 0, 8
	v_lshrrev_b32_e32 v71, 16, v15
	v_bfe_i32 v13, v13, 0, 8
	v_cvt_f32_i32_e32 v63, v63
	v_bfe_i32 v70, v70, 0, 16
	v_mul_f32_e32 v9, v37, v64
	v_dual_fmac_f32 v10, v42, v16 :: v_dual_fmac_f32 v5, v21, v7
	v_lshrrev_b32_e32 v15, 24, v15
	v_bfe_i32 v71, v71, 0, 8
	v_bfe_i32 v69, v69, 0, 16
	;; [unrolled: 1-line block ×3, first 2 shown]
	v_cvt_f32_i32_e32 v18, v70
	v_fmac_f32_e32 v9, v36, v63
	v_fmac_f32_e32 v5, v25, v7
	v_bfe_i32 v15, v15, 0, 8
	v_cvt_f32_i32_e32 v69, v69
	v_bfe_i32 v71, v71, 0, 16
	v_cvt_f32_i32_e32 v13, v13
	s_waitcnt vmcnt(0)
	v_mul_f32_e32 v11, v45, v18
	v_fmac_f32_e32 v9, v38, v49
	v_fmac_f32_e32 v5, v20, v7
	v_bfe_i32 v15, v15, 0, 16
	v_cvt_f32_i32_e32 v12, v71
	v_fmac_f32_e32 v11, v44, v69
	v_fmac_f32_e32 v9, v39, v13
	;; [unrolled: 1-line block ×3, first 2 shown]
	v_cvt_f32_i32_e32 v8, v15
	s_delay_alu instid0(VALU_DEP_4) | instskip(NEXT) | instid1(VALU_DEP_3)
	v_dual_fmac_f32 v10, v43, v14 :: v_dual_fmac_f32 v11, v46, v12
	v_fmac_f32_e32 v5, v9, v7
	s_delay_alu instid0(VALU_DEP_2) | instskip(NEXT) | instid1(VALU_DEP_2)
	v_fmac_f32_e32 v11, v47, v8
	v_fmac_f32_e32 v5, v10, v7
	s_delay_alu instid0(VALU_DEP_1)
	v_fmac_f32_e32 v5, v11, v7
	s_and_not1_b32 exec_lo, exec_lo, s4
	s_cbranch_execz .LBB29_14
.LBB29_6:                               ; =>This Inner Loop Header: Depth=1
	global_load_u16 v7, v[1:2], off offset:-33
	s_mov_b32 s2, exec_lo
	s_waitcnt vmcnt(0)
	v_lshrrev_b16 v8, 8, v7
	s_delay_alu instid0(VALU_DEP_1) | instskip(NEXT) | instid1(VALU_DEP_1)
	v_and_b32_e32 v8, 0xffff, v8
	v_lshrrev_b32_e32 v9, 7, v8
	v_bfe_u32 v10, v8, 2, 5
	v_perm_b32 v8, v8, v7, 0x6050400
	s_delay_alu instid0(VALU_DEP_3) | instskip(NEXT) | instid1(VALU_DEP_3)
	v_lshlrev_b32_e32 v7, 31, v9
	v_cmpx_lt_i32_e32 30, v10
	s_xor_b32 s2, exec_lo, s2
; %bb.7:                                ;   in Loop: Header=BB29_6 Depth=1
	v_lshlrev_b32_e32 v7, 31, v9
	v_lshlrev_b32_e32 v8, 13, v8
                                        ; implicit-def: $vgpr10
                                        ; implicit-def: $vgpr9
	s_delay_alu instid0(VALU_DEP_1)
	v_or3_b32 v7, v8, v7, 0x7f800000
                                        ; implicit-def: $vgpr8
; %bb.8:                                ;   in Loop: Header=BB29_6 Depth=1
	s_and_not1_saveexec_b32 s2, s2
	s_cbranch_execz .LBB29_5
; %bb.9:                                ;   in Loop: Header=BB29_6 Depth=1
	v_and_b32_e32 v11, 0x3ff, v8
	s_mov_b32 s7, exec_lo
	v_cmpx_ne_u32_e32 0, v10
	s_xor_b32 s7, exec_lo, s7
; %bb.10:                               ;   in Loop: Header=BB29_6 Depth=1
	v_lshlrev_b32_e32 v7, 31, v9
	v_lshlrev_b32_e32 v8, 23, v10
	;; [unrolled: 1-line block ×3, first 2 shown]
                                        ; implicit-def: $vgpr11
	s_delay_alu instid0(VALU_DEP_1) | instskip(NEXT) | instid1(VALU_DEP_1)
	v_or3_b32 v7, v8, v7, v9
                                        ; implicit-def: $vgpr8
                                        ; implicit-def: $vgpr9
	v_add_nc_u32_e32 v7, 0x38000000, v7
; %bb.11:                               ;   in Loop: Header=BB29_6 Depth=1
	s_and_not1_saveexec_b32 s7, s7
	s_cbranch_execz .LBB29_4
; %bb.12:                               ;   in Loop: Header=BB29_6 Depth=1
	s_mov_b32 s14, exec_lo
	v_cmpx_ne_u32_e32 0, v11
	s_xor_b32 s14, exec_lo, s14
	s_cbranch_execz .LBB29_3
; %bb.13:                               ;   in Loop: Header=BB29_6 Depth=1
	v_clz_i32_u32_e32 v7, v11
	v_lshlrev_b32_e32 v9, 31, v9
	s_delay_alu instid0(VALU_DEP_2) | instskip(SKIP_1) | instid1(VALU_DEP_2)
	v_xor_b32_e32 v10, 31, v7
	v_lshlrev_b32_e32 v7, 23, v7
	v_sub_nc_u32_e32 v10, 9, v10
	s_delay_alu instid0(VALU_DEP_1) | instskip(NEXT) | instid1(VALU_DEP_1)
	v_lshlrev_b32_e32 v8, v10, v8
	v_lshlrev_b32_e32 v8, 14, v8
	s_delay_alu instid0(VALU_DEP_1) | instskip(NEXT) | instid1(VALU_DEP_1)
	v_and_or_b32 v8, 0x7fc000, v8, v9
	v_sub_nc_u32_e32 v7, v8, v7
	s_delay_alu instid0(VALU_DEP_1)
	v_add_nc_u32_e32 v7, 0x43000000, v7
	s_branch .LBB29_3
.LBB29_14:
	s_or_b32 exec_lo, exec_lo, s4
.LBB29_15:
	s_delay_alu instid0(SALU_CYCLE_1) | instskip(SKIP_2) | instid1(VALU_DEP_1)
	s_or_b32 exec_lo, exec_lo, s12
	v_mbcnt_lo_u32_b32 v4, -1, 0
	s_mov_b32 s2, exec_lo
	v_cmp_gt_u32_e32 vcc_lo, 16, v4
	v_cndmask_b32_e64 v1, 0, 1, vcc_lo
	v_cmp_gt_u32_e32 vcc_lo, 24, v4
	s_delay_alu instid0(VALU_DEP_2) | instskip(SKIP_2) | instid1(VALU_DEP_3)
	v_lshlrev_b32_e32 v1, 4, v1
	v_cndmask_b32_e64 v2, 0, 1, vcc_lo
	v_cmp_gt_u32_e32 vcc_lo, 28, v4
	v_add_lshl_u32 v1, v1, v4, 2
	ds_bpermute_b32 v3, v1, v5
	s_waitcnt lgkmcnt(0)
	v_dual_add_f32 v5, v5, v3 :: v_dual_lshlrev_b32 v2, 3, v2
	s_delay_alu instid0(VALU_DEP_1) | instskip(SKIP_4) | instid1(VALU_DEP_1)
	v_add_lshl_u32 v2, v2, v4, 2
	v_cndmask_b32_e64 v3, 0, 1, vcc_lo
	v_cmp_gt_u32_e32 vcc_lo, 30, v4
	ds_bpermute_b32 v6, v2, v5
	v_lshlrev_b32_e32 v3, 2, v3
	v_add_lshl_u32 v3, v3, v4, 2
	s_waitcnt lgkmcnt(0)
	v_add_f32_e32 v6, v5, v6
	v_cndmask_b32_e64 v5, 0, 1, vcc_lo
	v_cmp_ne_u32_e32 vcc_lo, 31, v4
	ds_bpermute_b32 v7, v3, v6
	v_lshlrev_b32_e32 v5, 1, v5
	v_add_co_ci_u32_e32 v8, vcc_lo, 0, v4, vcc_lo
	s_waitcnt lgkmcnt(0)
	v_add_f32_e32 v6, v6, v7
	s_delay_alu instid0(VALU_DEP_3)
	v_add_lshl_u32 v5, v5, v4, 2
	ds_bpermute_b32 v7, v5, v6
	s_waitcnt lgkmcnt(0)
	v_dual_add_f32 v4, v6, v7 :: v_dual_and_b32 v7, 31, v0
	v_lshlrev_b32_e32 v6, 2, v8
	ds_bpermute_b32 v8, v6, v4
	v_cmpx_eq_u32_e32 0, v7
	s_cbranch_execz .LBB29_17
; %bb.16:
	s_waitcnt lgkmcnt(0)
	v_add_f32_e32 v4, v4, v8
	v_lshrrev_b32_e32 v8, 3, v0
	ds_store_b32 v8, v4
.LBB29_17:
	s_or_b32 exec_lo, exec_lo, s2
	s_waitcnt lgkmcnt(0)
	s_barrier
	buffer_gl0_inv
	s_load_b32 s0, s[0:1], 0x3c
	v_mov_b32_e32 v4, 0
	s_waitcnt lgkmcnt(0)
	s_and_b32 s0, s0, 0xffff
	s_delay_alu instid0(SALU_CYCLE_1) | instskip(NEXT) | instid1(SALU_CYCLE_1)
	s_add_i32 s0, s0, 31
	s_lshr_b32 s0, s0, 5
	s_delay_alu instid0(SALU_CYCLE_1)
	v_cmp_gt_u32_e32 vcc_lo, s0, v0
	s_and_saveexec_b32 s0, vcc_lo
	s_cbranch_execz .LBB29_19
; %bb.18:
	v_lshlrev_b32_e32 v4, 2, v7
	ds_load_b32 v4, v4
.LBB29_19:
	s_or_b32 exec_lo, exec_lo, s0
	s_delay_alu instid0(SALU_CYCLE_1)
	s_mov_b32 s0, exec_lo
	v_cmpx_gt_u32_e32 32, v0
	s_cbranch_execz .LBB29_21
; %bb.20:
	s_waitcnt lgkmcnt(0)
	ds_bpermute_b32 v1, v1, v4
	s_waitcnt lgkmcnt(0)
	v_add_f32_e32 v1, v4, v1
	ds_bpermute_b32 v2, v2, v1
	s_waitcnt lgkmcnt(0)
	v_add_f32_e32 v1, v1, v2
	;; [unrolled: 3-line block ×5, first 2 shown]
.LBB29_21:
	s_or_b32 exec_lo, exec_lo, s0
	s_mov_b32 s1, 0
	s_mov_b32 s0, exec_lo
	v_cmpx_eq_u32_e32 0, v0
	s_cbranch_execz .LBB29_25
; %bb.22:
	s_lshr_b32 s0, s8, 2
	s_delay_alu instid0(SALU_CYCLE_1) | instskip(NEXT) | instid1(SALU_CYCLE_1)
	s_add_i32 s0, s0, s15
	s_lshl_b64 s[0:1], s[0:1], 2
	s_delay_alu instid0(SALU_CYCLE_1)
	s_add_u32 s0, s10, s0
	s_addc_u32 s1, s11, s1
	s_cmp_eq_u32 s9, 0
	s_cbranch_scc1 .LBB29_24
; %bb.23:
	s_load_b32 s2, s[0:1], 0x0
	s_waitcnt lgkmcnt(0)
	v_add_f32_e32 v4, s2, v4
.LBB29_24:
	v_mov_b32_e32 v0, 0
	s_waitcnt lgkmcnt(0)
	global_store_b32 v0, v4, s[0:1]
.LBB29_25:
	s_nop 0
	s_sendmsg sendmsg(MSG_DEALLOC_VGPRS)
	s_endpgm
	.section	.rodata,"a",@progbits
	.p2align	6, 0x0
	.amdhsa_kernel dmmv_q8_0_fast
		.amdhsa_group_segment_fixed_size 128
		.amdhsa_private_segment_fixed_size 0
		.amdhsa_kernarg_size 304
		.amdhsa_user_sgpr_count 15
		.amdhsa_user_sgpr_dispatch_ptr 0
		.amdhsa_user_sgpr_queue_ptr 0
		.amdhsa_user_sgpr_kernarg_segment_ptr 1
		.amdhsa_user_sgpr_dispatch_id 0
		.amdhsa_user_sgpr_private_segment_size 0
		.amdhsa_wavefront_size32 1
		.amdhsa_uses_dynamic_stack 0
		.amdhsa_enable_private_segment 0
		.amdhsa_system_sgpr_workgroup_id_x 1
		.amdhsa_system_sgpr_workgroup_id_y 0
		.amdhsa_system_sgpr_workgroup_id_z 0
		.amdhsa_system_sgpr_workgroup_info 0
		.amdhsa_system_vgpr_workitem_id 0
		.amdhsa_next_free_vgpr 72
		.amdhsa_next_free_sgpr 20
		.amdhsa_reserve_vcc 1
		.amdhsa_float_round_mode_32 0
		.amdhsa_float_round_mode_16_64 0
		.amdhsa_float_denorm_mode_32 3
		.amdhsa_float_denorm_mode_16_64 3
		.amdhsa_dx10_clamp 1
		.amdhsa_ieee_mode 1
		.amdhsa_fp16_overflow 0
		.amdhsa_workgroup_processor_mode 1
		.amdhsa_memory_ordered 1
		.amdhsa_forward_progress 0
		.amdhsa_shared_vgpr_count 0
		.amdhsa_exception_fp_ieee_invalid_op 0
		.amdhsa_exception_fp_denorm_src 0
		.amdhsa_exception_fp_ieee_div_zero 0
		.amdhsa_exception_fp_ieee_overflow 0
		.amdhsa_exception_fp_ieee_underflow 0
		.amdhsa_exception_fp_ieee_inexact 0
		.amdhsa_exception_int_div_zero 0
	.end_amdhsa_kernel
	.text
.Lfunc_end29:
	.size	dmmv_q8_0_fast, .Lfunc_end29-dmmv_q8_0_fast
                                        ; -- End function
	.section	.AMDGPU.csdata,"",@progbits
; Kernel info:
; codeLenInByte = 2180
; NumSgprs: 22
; NumVgprs: 72
; ScratchSize: 0
; MemoryBound: 0
; FloatMode: 240
; IeeeMode: 1
; LDSByteSize: 128 bytes/workgroup (compile time only)
; SGPRBlocks: 2
; VGPRBlocks: 8
; NumSGPRsForWavesPerEU: 22
; NumVGPRsForWavesPerEU: 72
; Occupancy: 16
; WaveLimiterHint : 0
; COMPUTE_PGM_RSRC2:SCRATCH_EN: 0
; COMPUTE_PGM_RSRC2:USER_SGPR: 15
; COMPUTE_PGM_RSRC2:TRAP_HANDLER: 0
; COMPUTE_PGM_RSRC2:TGID_X_EN: 1
; COMPUTE_PGM_RSRC2:TGID_Y_EN: 0
; COMPUTE_PGM_RSRC2:TGID_Z_EN: 0
; COMPUTE_PGM_RSRC2:TIDIG_COMP_CNT: 0
	.text
	.protected	dmmv_q4k_mr2            ; -- Begin function dmmv_q4k_mr2
	.globl	dmmv_q4k_mr2
	.p2align	8
	.type	dmmv_q4k_mr2,@function
dmmv_q4k_mr2:                           ; @dmmv_q4k_mr2
; %bb.0:
	s_load_b32 s12, s[0:1], 0x18
	s_add_u32 s10, s0, 24
	s_addc_u32 s11, s1, 0
	s_lshl_b32 s13, s15, 1
	s_waitcnt lgkmcnt(0)
	s_cmp_ge_u32 s13, s12
	s_cbranch_scc1 .LBB30_77
; %bb.1:
	s_clause 0x4
	s_load_b128 s[4:7], s[0:1], 0x1c
	s_load_b64 s[8:9], s[0:1], 0x10
	s_load_b32 s14, s[0:1], 0x3c
	s_load_b128 s[0:3], s[0:1], 0x0
	s_load_b64 s[10:11], s[10:11], 0x10
	v_lshrrev_b32_e32 v24, 4, v0
	v_dual_mov_b32 v23, 0 :: v_dual_mov_b32 v26, 0
	s_waitcnt lgkmcnt(0)
	s_lshr_b32 s7, s4, 8
	s_and_b32 s4, s14, 0xffff
	s_mov_b32 s14, exec_lo
	v_cmpx_gt_u32_e64 s7, v24
	s_cbranch_execz .LBB30_55
; %bb.2:
	v_dual_mov_b32 v18, 0 :: v_dual_lshlrev_b32 v1, 3, v0
	v_bfe_u32 v2, v0, 3, 1
	v_dual_mov_b32 v20, 0 :: v_dual_and_b32 v3, 4, v0
	s_delay_alu instid0(VALU_DEP_3) | instskip(NEXT) | instid1(VALU_DEP_3)
	v_dual_mov_b32 v26, 0 :: v_dual_and_b32 v1, 24, v1
	v_dual_mov_b32 v23, 0 :: v_dual_lshlrev_b32 v4, 5, v2
	s_and_b32 s6, s6, -4
	s_lshr_b32 s16, s4, 4
	s_add_u32 s2, s2, s6
	s_delay_alu instid0(VALU_DEP_1)
	v_or3_b32 v4, v4, v1, v3
	s_addc_u32 s3, s3, 0
	s_lshr_b32 s17, s5, 2
	s_or_b32 s5, s13, 1
	v_lshlrev_b32_e32 v5, 6, v2
	v_lshrrev_b32_e32 v4, 2, v4
	s_cmp_lt_u32 s5, s12
	v_lshlrev_b32_e32 v27, 4, v2
	s_cselect_b32 s5, -1, 0
	s_add_i32 s18, s13, 1
	v_add_nc_u32_e32 v4, s17, v4
	v_lshl_or_b32 v2, v24, 8, v5
	s_mul_i32 s15, s15, s7
	s_mul_i32 s18, s7, s18
	;; [unrolled: 1-line block ×4, first 2 shown]
	v_mul_u32_u24_e32 v25, 36, v24
	v_add_nc_u32_e32 v28, s18, v4
	v_add_nc_u32_e32 v29, s19, v4
	v_or3_b32 v30, v2, v1, v3
	s_mul_i32 s6, s16, 36
	s_add_i32 s15, s17, s18
	s_add_i32 s17, s17, s19
	s_lshl_b32 s19, s16, 8
	s_mov_b32 s18, 0
	s_brev_b32 s20, 1
	s_branch .LBB30_7
.LBB30_3:                               ;   in Loop: Header=BB30_7 Depth=1
	s_or_b32 exec_lo, exec_lo, s23
.LBB30_4:                               ;   in Loop: Header=BB30_7 Depth=1
	s_delay_alu instid0(SALU_CYCLE_1)
	s_or_b32 exec_lo, exec_lo, s22
.LBB30_5:                               ;   in Loop: Header=BB30_7 Depth=1
	s_delay_alu instid0(SALU_CYCLE_1) | instskip(SKIP_1) | instid1(VALU_DEP_1)
	s_or_b32 exec_lo, exec_lo, s21
	v_add_nc_u32_e32 v17, 1, v19
	v_lshlrev_b64 v[38:39], 2, v[17:18]
	v_add_nc_u32_e32 v17, 2, v19
	s_delay_alu instid0(VALU_DEP_1) | instskip(SKIP_1) | instid1(VALU_DEP_4)
	v_lshlrev_b64 v[40:41], 2, v[17:18]
	v_add_nc_u32_e32 v17, 3, v19
	v_add_co_u32 v38, vcc_lo, s0, v38
	v_add_co_ci_u32_e32 v39, vcc_lo, s1, v39, vcc_lo
	s_delay_alu instid0(VALU_DEP_4) | instskip(NEXT) | instid1(VALU_DEP_4)
	v_add_co_u32 v40, vcc_lo, s0, v40
	v_lshlrev_b64 v[42:43], 2, v[17:18]
	v_add_co_ci_u32_e32 v41, vcc_lo, s1, v41, vcc_lo
	v_add_nc_u32_e32 v19, v25, v28
	s_clause 0x1
	global_load_b32 v44, v[38:39], off
	global_load_b32 v40, v[40:41], off
	v_add_co_u32 v38, vcc_lo, s0, v42
	v_add_co_ci_u32_e32 v39, vcc_lo, s1, v43, vcc_lo
	v_add_nc_u32_e32 v17, 4, v19
	global_load_b32 v41, v[38:39], off
	v_lshlrev_b64 v[38:39], 2, v[17:18]
	v_add_nc_u32_e32 v17, 20, v19
	s_delay_alu instid0(VALU_DEP_2) | instskip(NEXT) | instid1(VALU_DEP_3)
	v_add_co_u32 v38, vcc_lo, s0, v38
	v_add_co_ci_u32_e32 v39, vcc_lo, s1, v39, vcc_lo
	global_load_b32 v42, v[38:39], off
	v_lshlrev_b64 v[38:39], 2, v[17:18]
	s_delay_alu instid0(VALU_DEP_1) | instskip(NEXT) | instid1(VALU_DEP_2)
	v_add_co_u32 v38, vcc_lo, s0, v38
	v_add_co_ci_u32_e32 v39, vcc_lo, s1, v39, vcc_lo
	global_load_b32 v17, v[38:39], off
	s_waitcnt vmcnt(4)
	v_bfe_u32 v19, v44, v27, 6
	v_lshrrev_b32_e32 v38, v27, v44
	s_waitcnt vmcnt(3)
	v_lshrrev_b32_e32 v39, v27, v40
	v_bfe_u32 v40, v40, v27, 6
	v_cvt_f32_ubyte0_e32 v19, v19
	v_lshrrev_b32_e32 v44, 2, v38
	s_delay_alu instid0(VALU_DEP_4)
	v_bfe_u32 v45, v39, 8, 6
	v_lshrrev_b32_e32 v46, 2, v39
	s_waitcnt vmcnt(2)
	v_lshrrev_b32_e32 v41, v27, v41
	v_bfe_u32 v43, v38, 8, 6
	v_lshrrev_b32_e32 v38, 10, v38
	v_dual_mul_f32 v19, v36, v19 :: v_dual_and_b32 v44, 48, v44
	v_cvt_f32_ubyte0_e32 v40, v40
	v_lshrrev_b32_e32 v39, 10, v39
	v_cvt_f32_ubyte0_e32 v45, v45
	v_lshrrev_b32_e32 v47, 4, v41
	v_and_b32_e32 v46, 48, v46
	v_cvt_f32_ubyte0_e32 v43, v43
	v_and_b32_e32 v38, 48, v38
	v_mul_f32_e32 v40, v37, v40
	v_and_or_b32 v44, v41, 15, v44
	v_lshrrev_b32_e32 v48, 8, v41
	v_mul_f32_e32 v43, v36, v43
	s_waitcnt vmcnt(1)
	v_bfe_u32 v50, v42, 8, 4
	v_lshrrev_b32_e32 v41, 12, v41
	v_and_b32_e32 v39, 48, v39
	v_and_b32_e32 v49, 15, v42
	v_bfe_u32 v51, v42, 16, 4
	v_bfe_u32 v52, v42, 24, 4
	;; [unrolled: 1-line block ×3, first 2 shown]
	v_mul_f32_e32 v45, v37, v45
	v_and_or_b32 v46, v47, 15, v46
	v_cvt_f32_ubyte0_e32 v47, v50
	v_bfe_u32 v53, v42, 4, 4
	v_and_or_b32 v38, v48, 15, v38
	v_and_or_b32 v39, v41, 15, v39
	v_cvt_f32_ubyte0_e32 v41, v49
	v_cvt_f32_ubyte0_e32 v48, v51
	;; [unrolled: 1-line block ×4, first 2 shown]
	v_fma_f32 v47, v19, v47, -v40
	v_bfe_u32 v55, v42, 20, 4
	v_cvt_f32_ubyte0_e32 v50, v53
	v_fma_f32 v41, v19, v41, -v40
	v_fma_f32 v48, v19, v48, -v40
	;; [unrolled: 1-line block ×4, first 2 shown]
	v_mul_f32_e32 v47, v14, v47
	v_lshrrev_b32_e32 v42, 28, v42
	v_cvt_f32_ubyte0_e32 v52, v55
	v_fma_f32 v40, v43, v50, -v45
	v_mul_f32_e32 v49, v10, v49
	v_fmac_f32_e32 v47, v13, v41
	v_cvt_f32_ubyte0_e32 v44, v44
	v_cvt_f32_ubyte0_e32 v42, v42
	s_waitcnt vmcnt(0)
	v_bfe_u32 v54, v17, 8, 4
	v_cvt_f32_ubyte0_e32 v46, v46
	v_fma_f32 v50, v43, v52, -v45
	v_fmac_f32_e32 v49, v9, v40
	v_fmac_f32_e32 v47, v15, v48
	v_bfe_u32 v58, v17, 12, 4
	v_mul_f32_e32 v44, v36, v44
	v_cvt_f32_ubyte0_e32 v38, v38
	v_cvt_f32_ubyte0_e32 v39, v39
	v_fma_f32 v42, v43, v42, -v45
	v_cvt_f32_ubyte0_e32 v45, v54
	v_mul_f32_e32 v46, v37, v46
	v_fmac_f32_e32 v49, v11, v50
	v_fmac_f32_e32 v47, v16, v19
	v_and_b32_e32 v53, 15, v17
	v_bfe_u32 v55, v17, 16, 4
	v_bfe_u32 v56, v17, 24, 4
	;; [unrolled: 1-line block ×3, first 2 shown]
	v_cvt_f32_ubyte0_e32 v54, v58
	v_dual_mul_f32 v36, v36, v38 :: v_dual_mul_f32 v37, v37, v39
	v_fma_f32 v38, v44, v45, -v46
	v_dual_fmac_f32 v49, v12, v42 :: v_dual_add_f32 v42, 0, v47
	v_cvt_f32_ubyte0_e32 v43, v53
	v_bfe_u32 v59, v17, 20, 4
	v_cvt_f32_ubyte0_e32 v51, v55
	v_cvt_f32_ubyte0_e32 v52, v56
	;; [unrolled: 1-line block ×3, first 2 shown]
	v_fma_f32 v39, v44, v43, -v46
	v_mul_f32_e32 v38, v6, v38
	v_fma_f32 v43, v36, v54, -v37
	v_lshrrev_b32_e32 v17, 28, v17
	v_cvt_f32_ubyte0_e32 v55, v59
	v_fma_f32 v40, v44, v51, -v46
	v_fma_f32 v41, v44, v52, -v46
	v_fma_f32 v44, v36, v53, -v37
	v_fmac_f32_e32 v38, v5, v39
	v_mul_f32_e32 v19, v2, v43
	v_cvt_f32_ubyte0_e32 v17, v17
	v_fma_f32 v39, v36, v55, -v37
	s_delay_alu instid0(VALU_DEP_4) | instskip(NEXT) | instid1(VALU_DEP_4)
	v_fmac_f32_e32 v38, v7, v40
	v_fmac_f32_e32 v19, v1, v44
	s_delay_alu instid0(VALU_DEP_4) | instskip(SKIP_1) | instid1(VALU_DEP_3)
	v_fma_f32 v17, v36, v17, -v37
	v_add_f32_e32 v36, v49, v42
	v_dual_fmac_f32 v38, v8, v41 :: v_dual_fmac_f32 v19, v3, v39
	s_delay_alu instid0(VALU_DEP_1) | instskip(NEXT) | instid1(VALU_DEP_1)
	v_dual_add_f32 v36, v38, v36 :: v_dual_fmac_f32 v19, v4, v17
	v_add_f32_e32 v17, v19, v36
	s_delay_alu instid0(VALU_DEP_1)
	v_add_f32_e32 v23, v23, v17
.LBB30_6:                               ;   in Loop: Header=BB30_7 Depth=1
	s_waitcnt vmcnt(4)
	v_bfe_u32 v17, v34, v27, 6
	s_waitcnt vmcnt(3)
	v_bfe_u32 v19, v35, v27, 6
	v_lshrrev_b32_e32 v35, v27, v35
	v_lshrrev_b32_e32 v34, v27, v34
	s_waitcnt vmcnt(2)
	v_lshrrev_b32_e32 v33, v27, v33
	v_cvt_f32_ubyte0_e32 v17, v17
	v_cvt_f32_ubyte0_e32 v19, v19
	v_lshrrev_b32_e32 v38, 2, v35
	v_bfe_u32 v36, v34, 8, 6
	v_lshrrev_b32_e32 v37, 2, v34
	v_mul_f32_e32 v17, v22, v17
	v_lshrrev_b32_e32 v34, 10, v34
	v_and_b32_e32 v38, 48, v38
	v_lshrrev_b32_e32 v40, 4, v33
	v_mul_f32_e32 v19, v31, v19
	v_cvt_f32_ubyte0_e32 v36, v36
	v_and_b32_e32 v34, 48, v34
	v_and_b32_e32 v37, 48, v37
	v_lshrrev_b32_e32 v41, 8, v33
	v_and_or_b32 v38, v40, 15, v38
	v_mul_f32_e32 v36, v22, v36
	s_waitcnt vmcnt(1)
	v_bfe_u32 v40, v32, 8, 4
	v_bfe_u32 v39, v35, 8, 6
	v_and_or_b32 v37, v33, 15, v37
	v_and_or_b32 v34, v41, 15, v34
	v_cvt_f32_ubyte0_e32 v38, v38
	v_cvt_f32_ubyte0_e32 v40, v40
	;; [unrolled: 1-line block ×5, first 2 shown]
	v_lshrrev_b32_e32 v33, 12, v33
	v_fma_f32 v40, v17, v40, -v19
	v_mul_f32_e32 v39, v31, v39
	v_dual_mul_f32 v37, v22, v37 :: v_dual_mul_f32 v38, v31, v38
	v_mul_f32_e32 v22, v22, v34
	v_lshrrev_b32_e32 v34, 10, v35
	v_mul_f32_e32 v14, v14, v40
	v_and_b32_e32 v41, 15, v32
	v_add_nc_u32_e32 v24, s16, v24
	v_add_nc_u32_e32 v28, s6, v28
	v_and_b32_e32 v34, 48, v34
	v_add_nc_u32_e32 v30, s19, v30
	v_cvt_f32_ubyte0_e32 v35, v41
	v_bfe_u32 v41, v32, 16, 4
	v_cmp_le_u32_e32 vcc_lo, s7, v24
	v_and_or_b32 v33, v33, 15, v34
	v_bfe_u32 v34, v32, 12, 4
	v_fma_f32 v35, v17, v35, -v19
	v_cvt_f32_ubyte0_e32 v40, v41
	v_bfe_u32 v41, v32, 24, 4
	v_cvt_f32_ubyte0_e32 v33, v33
	v_cvt_f32_ubyte0_e32 v34, v34
	v_fmac_f32_e32 v14, v13, v35
	v_fma_f32 v13, v17, v40, -v19
	v_cvt_f32_ubyte0_e32 v35, v41
	v_bfe_u32 v40, v32, 4, 4
	s_add_i32 s15, s15, s6
	s_add_i32 s17, s17, s6
	v_fmac_f32_e32 v14, v15, v13
	v_fma_f32 v13, v17, v35, -v19
	v_cvt_f32_ubyte0_e32 v15, v40
	v_fma_f32 v17, v36, v34, -v39
	v_mul_f32_e32 v19, v31, v33
	v_bfe_u32 v31, v32, 20, 4
	v_fmac_f32_e32 v14, v16, v13
	v_fma_f32 v13, v36, v15, -v39
	v_mul_f32_e32 v10, v10, v17
	s_waitcnt vmcnt(0)
	v_bfe_u32 v15, v21, 8, 4
	v_cvt_f32_ubyte0_e32 v16, v31
	v_lshrrev_b32_e32 v17, 28, v32
	v_and_b32_e32 v31, 15, v21
	v_fmac_f32_e32 v10, v9, v13
	v_cvt_f32_ubyte0_e32 v9, v15
	v_fma_f32 v13, v36, v16, -v39
	v_cvt_f32_ubyte0_e32 v15, v17
	v_cvt_f32_ubyte0_e32 v16, v31
	v_add_nc_u32_e32 v29, s6, v29
	v_fma_f32 v9, v37, v9, -v38
	v_fmac_f32_e32 v10, v11, v13
	v_fma_f32 v11, v36, v15, -v39
	v_fma_f32 v13, v37, v16, -v38
	v_bfe_u32 v15, v21, 12, 4
	v_mul_f32_e32 v6, v6, v9
	v_bfe_u32 v9, v21, 16, 4
	v_fmac_f32_e32 v10, v12, v11
	v_bfe_u32 v11, v21, 4, 4
	v_cvt_f32_ubyte0_e32 v12, v15
	v_fmac_f32_e32 v6, v5, v13
	v_cvt_f32_ubyte0_e32 v5, v9
	v_bfe_u32 v9, v21, 24, 4
	v_cvt_f32_ubyte0_e32 v11, v11
	v_fma_f32 v12, v22, v12, -v19
	v_bfe_u32 v13, v21, 20, 4
	v_fma_f32 v5, v37, v5, -v38
	v_cvt_f32_ubyte0_e32 v9, v9
	v_fma_f32 v11, v22, v11, -v19
	v_mul_f32_e32 v2, v2, v12
	v_cvt_f32_ubyte0_e32 v12, v13
	v_lshrrev_b32_e32 v13, 28, v21
	v_fmac_f32_e32 v6, v7, v5
	v_fma_f32 v5, v37, v9, -v38
	v_fmac_f32_e32 v2, v1, v11
	v_fma_f32 v1, v22, v12, -v19
	v_cvt_f32_ubyte0_e32 v7, v13
	s_or_b32 s18, vcc_lo, s18
	v_fmac_f32_e32 v6, v8, v5
	v_add_f32_e32 v14, 0, v14
	v_fmac_f32_e32 v2, v3, v1
	v_fma_f32 v1, v22, v7, -v19
	s_delay_alu instid0(VALU_DEP_1) | instskip(NEXT) | instid1(VALU_DEP_1)
	v_dual_add_f32 v9, v10, v14 :: v_dual_fmac_f32 v2, v4, v1
	v_add_f32_e32 v3, v6, v9
	s_delay_alu instid0(VALU_DEP_1) | instskip(NEXT) | instid1(VALU_DEP_1)
	v_add_f32_e32 v1, v2, v3
	v_add_f32_e32 v26, v26, v1
	s_and_not1_b32 exec_lo, exec_lo, s18
	s_cbranch_execz .LBB30_54
.LBB30_7:                               ; =>This Inner Loop Header: Depth=1
	v_dual_mov_b32 v22, v18 :: v_dual_add_nc_u32 v21, s17, v25
	v_lshrrev_b32_e32 v17, 2, v30
	s_mov_b32 s21, exec_lo
	s_delay_alu instid0(VALU_DEP_2) | instskip(NEXT) | instid1(VALU_DEP_2)
	v_lshlrev_b64 v[1:2], 2, v[21:22]
	v_lshlrev_b64 v[3:4], 4, v[17:18]
                                        ; implicit-def: $vgpr22
	s_delay_alu instid0(VALU_DEP_2) | instskip(NEXT) | instid1(VALU_DEP_3)
	v_add_co_u32 v1, vcc_lo, s0, v1
	v_add_co_ci_u32_e32 v2, vcc_lo, s1, v2, vcc_lo
	global_load_b32 v17, v[1:2], off
	v_add_co_u32 v1, vcc_lo, s2, v3
	v_add_co_ci_u32_e32 v2, vcc_lo, s3, v4, vcc_lo
	s_clause 0x3
	global_load_b128 v[13:16], v[1:2], off
	global_load_b128 v[9:12], v[1:2], off offset:128
	global_load_b128 v[5:8], v[1:2], off offset:512
	;; [unrolled: 1-line block ×3, first 2 shown]
	s_waitcnt vmcnt(4)
	v_bfe_u32 v31, v17, 10, 5
	v_bfe_u32 v19, v17, 15, 1
	s_delay_alu instid0(VALU_DEP_2)
	v_cmpx_lt_i32_e32 30, v31
	s_xor_b32 s21, exec_lo, s21
; %bb.8:                                ;   in Loop: Header=BB30_7 Depth=1
	v_and_b32_e32 v22, 0xffff, v17
	s_delay_alu instid0(VALU_DEP_3) | instskip(NEXT) | instid1(VALU_DEP_2)
	v_lshlrev_b32_e32 v19, 31, v19
                                        ; implicit-def: $vgpr31
	v_lshlrev_b32_e32 v22, 13, v22
	s_delay_alu instid0(VALU_DEP_1)
	v_or3_b32 v22, v19, v22, 0x7f800000
                                        ; implicit-def: $vgpr19
; %bb.9:                                ;   in Loop: Header=BB30_7 Depth=1
	s_and_not1_saveexec_b32 s21, s21
	s_cbranch_execz .LBB30_19
; %bb.10:                               ;   in Loop: Header=BB30_7 Depth=1
	v_and_b32_e32 v32, 0x3ff, v17
	s_mov_b32 s22, exec_lo
                                        ; implicit-def: $vgpr22
	v_cmpx_ne_u32_e32 0, v31
	s_xor_b32 s22, exec_lo, s22
; %bb.11:                               ;   in Loop: Header=BB30_7 Depth=1
	v_lshlrev_b32_e32 v19, 31, v19
	v_lshlrev_b32_e32 v22, 23, v31
	;; [unrolled: 1-line block ×3, first 2 shown]
                                        ; implicit-def: $vgpr32
	s_delay_alu instid0(VALU_DEP_1) | instskip(NEXT) | instid1(VALU_DEP_1)
	v_or3_b32 v19, v22, v19, v31
	v_add_nc_u32_e32 v22, 0x38000000, v19
                                        ; implicit-def: $vgpr19
; %bb.12:                               ;   in Loop: Header=BB30_7 Depth=1
	s_and_not1_saveexec_b32 s22, s22
	s_cbranch_execz .LBB30_18
; %bb.13:                               ;   in Loop: Header=BB30_7 Depth=1
	s_mov_b32 s23, exec_lo
                                        ; implicit-def: $vgpr22
	v_cmpx_ne_u32_e32 0, v32
	s_xor_b32 s23, exec_lo, s23
; %bb.14:                               ;   in Loop: Header=BB30_7 Depth=1
	v_clz_i32_u32_e32 v22, v32
	v_lshl_or_b32 v19, v19, 31, 0x43000000
	s_delay_alu instid0(VALU_DEP_2) | instskip(SKIP_1) | instid1(VALU_DEP_2)
	v_xor_b32_e32 v31, 31, v22
	v_lshlrev_b32_e32 v22, 23, v22
	v_sub_nc_u32_e32 v31, 9, v31
	s_delay_alu instid0(VALU_DEP_2) | instskip(NEXT) | instid1(VALU_DEP_2)
	v_sub_nc_u32_e32 v19, v19, v22
	v_lshlrev_b32_e32 v31, v31, v17
	s_delay_alu instid0(VALU_DEP_1) | instskip(NEXT) | instid1(VALU_DEP_1)
	v_lshlrev_b32_e32 v31, 14, v31
	v_and_or_b32 v22, 0x7fc000, v31, v19
                                        ; implicit-def: $vgpr19
; %bb.15:                               ;   in Loop: Header=BB30_7 Depth=1
	s_and_not1_saveexec_b32 s23, s23
; %bb.16:                               ;   in Loop: Header=BB30_7 Depth=1
	v_lshlrev_b32_e32 v22, 31, v19
; %bb.17:                               ;   in Loop: Header=BB30_7 Depth=1
	s_or_b32 exec_lo, exec_lo, s23
.LBB30_18:                              ;   in Loop: Header=BB30_7 Depth=1
	s_delay_alu instid0(SALU_CYCLE_1)
	s_or_b32 exec_lo, exec_lo, s22
.LBB30_19:                              ;   in Loop: Header=BB30_7 Depth=1
	s_delay_alu instid0(SALU_CYCLE_1) | instskip(SKIP_3) | instid1(VALU_DEP_2)
	s_or_b32 exec_lo, exec_lo, s21
	v_bfe_u32 v32, v17, 26, 5
	v_lshrrev_b32_e32 v19, 16, v17
	s_mov_b32 s21, exec_lo
                                        ; implicit-def: $vgpr31
	v_cmpx_lt_i32_e32 30, v32
	s_xor_b32 s21, exec_lo, s21
; %bb.20:                               ;   in Loop: Header=BB30_7 Depth=1
	v_and_b32_e32 v17, 0x80000000, v17
	v_lshlrev_b32_e32 v19, 13, v19
                                        ; implicit-def: $vgpr32
	s_delay_alu instid0(VALU_DEP_1)
	v_or3_b32 v31, v19, v17, 0x7f800000
                                        ; implicit-def: $vgpr19
                                        ; implicit-def: $vgpr17
; %bb.21:                               ;   in Loop: Header=BB30_7 Depth=1
	s_and_not1_saveexec_b32 s21, s21
	s_cbranch_execz .LBB30_31
; %bb.22:                               ;   in Loop: Header=BB30_7 Depth=1
	v_and_b32_e32 v33, 0x3ff, v19
	s_mov_b32 s22, exec_lo
                                        ; implicit-def: $vgpr31
	v_cmpx_ne_u32_e32 0, v32
	s_xor_b32 s22, exec_lo, s22
; %bb.23:                               ;   in Loop: Header=BB30_7 Depth=1
	v_and_b32_e32 v17, 0x80000000, v17
	v_lshlrev_b32_e32 v19, 23, v32
	v_lshlrev_b32_e32 v31, 13, v33
                                        ; implicit-def: $vgpr33
	s_delay_alu instid0(VALU_DEP_1) | instskip(NEXT) | instid1(VALU_DEP_1)
	v_or3_b32 v17, v19, v17, v31
                                        ; implicit-def: $vgpr19
	v_add_nc_u32_e32 v31, 0x38000000, v17
                                        ; implicit-def: $vgpr17
; %bb.24:                               ;   in Loop: Header=BB30_7 Depth=1
	s_and_not1_saveexec_b32 s22, s22
	s_cbranch_execz .LBB30_30
; %bb.25:                               ;   in Loop: Header=BB30_7 Depth=1
	s_mov_b32 s23, exec_lo
                                        ; implicit-def: $vgpr31
	v_cmpx_ne_u32_e32 0, v33
	s_xor_b32 s23, exec_lo, s23
; %bb.26:                               ;   in Loop: Header=BB30_7 Depth=1
	v_clz_i32_u32_e32 v31, v33
	v_and_or_b32 v17, v17, s20, 0x43000000
	s_delay_alu instid0(VALU_DEP_2) | instskip(SKIP_1) | instid1(VALU_DEP_2)
	v_xor_b32_e32 v32, 31, v31
	v_lshlrev_b32_e32 v31, 23, v31
	v_sub_nc_u32_e32 v32, 9, v32
	s_delay_alu instid0(VALU_DEP_2) | instskip(NEXT) | instid1(VALU_DEP_2)
	v_sub_nc_u32_e32 v17, v17, v31
	v_lshlrev_b32_e32 v19, v32, v19
	s_delay_alu instid0(VALU_DEP_1) | instskip(NEXT) | instid1(VALU_DEP_1)
	v_lshlrev_b32_e32 v19, 14, v19
	v_and_or_b32 v31, 0x7fc000, v19, v17
                                        ; implicit-def: $vgpr17
; %bb.27:                               ;   in Loop: Header=BB30_7 Depth=1
	s_and_not1_saveexec_b32 s23, s23
; %bb.28:                               ;   in Loop: Header=BB30_7 Depth=1
	v_and_b32_e32 v31, 0x80000000, v17
; %bb.29:                               ;   in Loop: Header=BB30_7 Depth=1
	s_or_b32 exec_lo, exec_lo, s23
.LBB30_30:                              ;   in Loop: Header=BB30_7 Depth=1
	s_delay_alu instid0(SALU_CYCLE_1)
	s_or_b32 exec_lo, exec_lo, s22
.LBB30_31:                              ;   in Loop: Header=BB30_7 Depth=1
	s_delay_alu instid0(SALU_CYCLE_1) | instskip(SKIP_2) | instid1(VALU_DEP_2)
	s_or_b32 exec_lo, exec_lo, s21
	v_add_nc_u32_e32 v17, 1, v21
	v_add_nc_u32_e32 v19, v25, v29
	v_lshlrev_b64 v[32:33], 2, v[17:18]
	v_add_nc_u32_e32 v17, 2, v21
	s_delay_alu instid0(VALU_DEP_1) | instskip(SKIP_1) | instid1(VALU_DEP_4)
	v_lshlrev_b64 v[34:35], 2, v[17:18]
	v_add_nc_u32_e32 v17, 3, v21
	v_add_co_u32 v32, vcc_lo, s0, v32
	v_add_co_ci_u32_e32 v33, vcc_lo, s1, v33, vcc_lo
	s_delay_alu instid0(VALU_DEP_3) | instskip(SKIP_3) | instid1(VALU_DEP_3)
	v_lshlrev_b64 v[36:37], 2, v[17:18]
	v_add_nc_u32_e32 v17, 4, v19
	v_add_co_u32 v38, vcc_lo, s0, v34
	v_add_co_ci_u32_e32 v39, vcc_lo, s1, v35, vcc_lo
	v_lshlrev_b64 v[34:35], 2, v[17:18]
	v_add_nc_u32_e32 v17, 20, v19
	v_add_co_u32 v36, vcc_lo, s0, v36
	v_add_co_ci_u32_e32 v37, vcc_lo, s1, v37, vcc_lo
	s_delay_alu instid0(VALU_DEP_3) | instskip(SKIP_2) | instid1(VALU_DEP_3)
	v_lshlrev_b64 v[40:41], 2, v[17:18]
	v_add_co_u32 v42, vcc_lo, s0, v34
	v_add_co_ci_u32_e32 v43, vcc_lo, s1, v35, vcc_lo
	v_add_co_u32 v40, vcc_lo, s0, v40
	s_delay_alu instid0(VALU_DEP_4)
	v_add_co_ci_u32_e32 v41, vcc_lo, s1, v41, vcc_lo
	s_clause 0x4
	global_load_b32 v34, v[32:33], off
	global_load_b32 v35, v[38:39], off
	;; [unrolled: 1-line block ×5, first 2 shown]
	s_and_not1_b32 vcc_lo, exec_lo, s5
	s_cbranch_vccnz .LBB30_6
; %bb.32:                               ;   in Loop: Header=BB30_7 Depth=1
	v_add_nc_u32_e32 v19, s15, v25
	s_mov_b32 s21, exec_lo
	s_delay_alu instid0(VALU_DEP_1) | instskip(NEXT) | instid1(VALU_DEP_1)
	v_lshlrev_b64 v[36:37], 2, v[19:20]
	v_add_co_u32 v36, vcc_lo, s0, v36
	s_delay_alu instid0(VALU_DEP_2) | instskip(SKIP_4) | instid1(VALU_DEP_2)
	v_add_co_ci_u32_e32 v37, vcc_lo, s1, v37, vcc_lo
	global_load_b32 v17, v[36:37], off
                                        ; implicit-def: $vgpr36
	s_waitcnt vmcnt(0)
	v_bfe_u32 v38, v17, 10, 5
	v_bfe_u32 v37, v17, 15, 1
	v_cmpx_lt_i32_e32 30, v38
	s_xor_b32 s21, exec_lo, s21
; %bb.33:                               ;   in Loop: Header=BB30_7 Depth=1
	v_and_b32_e32 v36, 0xffff, v17
	s_delay_alu instid0(VALU_DEP_3) | instskip(NEXT) | instid1(VALU_DEP_2)
	v_lshlrev_b32_e32 v37, 31, v37
                                        ; implicit-def: $vgpr38
	v_lshlrev_b32_e32 v36, 13, v36
	s_delay_alu instid0(VALU_DEP_1)
	v_or3_b32 v36, v37, v36, 0x7f800000
                                        ; implicit-def: $vgpr37
; %bb.34:                               ;   in Loop: Header=BB30_7 Depth=1
	s_and_not1_saveexec_b32 s21, s21
	s_cbranch_execz .LBB30_44
; %bb.35:                               ;   in Loop: Header=BB30_7 Depth=1
	v_and_b32_e32 v39, 0x3ff, v17
	s_mov_b32 s22, exec_lo
                                        ; implicit-def: $vgpr36
	v_cmpx_ne_u32_e32 0, v38
	s_xor_b32 s22, exec_lo, s22
; %bb.36:                               ;   in Loop: Header=BB30_7 Depth=1
	v_lshlrev_b32_e32 v36, 31, v37
	v_lshlrev_b32_e32 v37, 23, v38
	;; [unrolled: 1-line block ×3, first 2 shown]
                                        ; implicit-def: $vgpr39
	s_delay_alu instid0(VALU_DEP_1) | instskip(NEXT) | instid1(VALU_DEP_1)
	v_or3_b32 v36, v37, v36, v38
                                        ; implicit-def: $vgpr37
	v_add_nc_u32_e32 v36, 0x38000000, v36
; %bb.37:                               ;   in Loop: Header=BB30_7 Depth=1
	s_and_not1_saveexec_b32 s22, s22
	s_cbranch_execz .LBB30_43
; %bb.38:                               ;   in Loop: Header=BB30_7 Depth=1
	s_mov_b32 s23, exec_lo
                                        ; implicit-def: $vgpr36
	v_cmpx_ne_u32_e32 0, v39
	s_xor_b32 s23, exec_lo, s23
; %bb.39:                               ;   in Loop: Header=BB30_7 Depth=1
	v_clz_i32_u32_e32 v36, v39
	v_lshl_or_b32 v37, v37, 31, 0x43000000
	s_delay_alu instid0(VALU_DEP_2) | instskip(SKIP_1) | instid1(VALU_DEP_2)
	v_xor_b32_e32 v38, 31, v36
	v_lshlrev_b32_e32 v36, 23, v36
	v_sub_nc_u32_e32 v38, 9, v38
	s_delay_alu instid0(VALU_DEP_2) | instskip(NEXT) | instid1(VALU_DEP_2)
	v_sub_nc_u32_e32 v36, v37, v36
                                        ; implicit-def: $vgpr37
	v_lshlrev_b32_e32 v38, v38, v17
	s_delay_alu instid0(VALU_DEP_1) | instskip(NEXT) | instid1(VALU_DEP_1)
	v_lshlrev_b32_e32 v38, 14, v38
	v_and_or_b32 v36, 0x7fc000, v38, v36
; %bb.40:                               ;   in Loop: Header=BB30_7 Depth=1
	s_and_not1_saveexec_b32 s23, s23
; %bb.41:                               ;   in Loop: Header=BB30_7 Depth=1
	v_lshlrev_b32_e32 v36, 31, v37
; %bb.42:                               ;   in Loop: Header=BB30_7 Depth=1
	s_or_b32 exec_lo, exec_lo, s23
.LBB30_43:                              ;   in Loop: Header=BB30_7 Depth=1
	s_delay_alu instid0(SALU_CYCLE_1)
	s_or_b32 exec_lo, exec_lo, s22
.LBB30_44:                              ;   in Loop: Header=BB30_7 Depth=1
	s_delay_alu instid0(SALU_CYCLE_1) | instskip(SKIP_3) | instid1(VALU_DEP_2)
	s_or_b32 exec_lo, exec_lo, s21
	v_bfe_u32 v39, v17, 26, 5
	v_lshrrev_b32_e32 v38, 16, v17
	s_mov_b32 s21, exec_lo
                                        ; implicit-def: $vgpr37
	v_cmpx_lt_i32_e32 30, v39
	s_xor_b32 s21, exec_lo, s21
; %bb.45:                               ;   in Loop: Header=BB30_7 Depth=1
	v_and_b32_e32 v17, 0x80000000, v17
	v_lshlrev_b32_e32 v37, 13, v38
                                        ; implicit-def: $vgpr38
                                        ; implicit-def: $vgpr39
	s_delay_alu instid0(VALU_DEP_1)
	v_or3_b32 v37, v37, v17, 0x7f800000
                                        ; implicit-def: $vgpr17
; %bb.46:                               ;   in Loop: Header=BB30_7 Depth=1
	s_and_not1_saveexec_b32 s21, s21
	s_cbranch_execz .LBB30_5
; %bb.47:                               ;   in Loop: Header=BB30_7 Depth=1
	v_and_b32_e32 v40, 0x3ff, v38
	s_mov_b32 s22, exec_lo
                                        ; implicit-def: $vgpr37
	v_cmpx_ne_u32_e32 0, v39
	s_xor_b32 s22, exec_lo, s22
; %bb.48:                               ;   in Loop: Header=BB30_7 Depth=1
	v_and_b32_e32 v17, 0x80000000, v17
	v_lshlrev_b32_e32 v37, 23, v39
	v_lshlrev_b32_e32 v38, 13, v40
                                        ; implicit-def: $vgpr40
	s_delay_alu instid0(VALU_DEP_1) | instskip(NEXT) | instid1(VALU_DEP_1)
	v_or3_b32 v17, v37, v17, v38
                                        ; implicit-def: $vgpr38
	v_add_nc_u32_e32 v37, 0x38000000, v17
                                        ; implicit-def: $vgpr17
; %bb.49:                               ;   in Loop: Header=BB30_7 Depth=1
	s_and_not1_saveexec_b32 s22, s22
	s_cbranch_execz .LBB30_4
; %bb.50:                               ;   in Loop: Header=BB30_7 Depth=1
	s_mov_b32 s23, exec_lo
                                        ; implicit-def: $vgpr37
	v_cmpx_ne_u32_e32 0, v40
	s_xor_b32 s23, exec_lo, s23
; %bb.51:                               ;   in Loop: Header=BB30_7 Depth=1
	v_clz_i32_u32_e32 v37, v40
	v_and_or_b32 v17, v17, s20, 0x43000000
	s_delay_alu instid0(VALU_DEP_2) | instskip(SKIP_1) | instid1(VALU_DEP_2)
	v_xor_b32_e32 v39, 31, v37
	v_lshlrev_b32_e32 v37, 23, v37
	v_sub_nc_u32_e32 v39, 9, v39
	s_delay_alu instid0(VALU_DEP_2) | instskip(NEXT) | instid1(VALU_DEP_2)
	v_sub_nc_u32_e32 v17, v17, v37
	v_lshlrev_b32_e32 v38, v39, v38
	s_delay_alu instid0(VALU_DEP_1) | instskip(NEXT) | instid1(VALU_DEP_1)
	v_lshlrev_b32_e32 v38, 14, v38
	v_and_or_b32 v37, 0x7fc000, v38, v17
                                        ; implicit-def: $vgpr17
; %bb.52:                               ;   in Loop: Header=BB30_7 Depth=1
	s_and_not1_saveexec_b32 s23, s23
	s_cbranch_execz .LBB30_3
; %bb.53:                               ;   in Loop: Header=BB30_7 Depth=1
	v_and_b32_e32 v37, 0x80000000, v17
	s_branch .LBB30_3
.LBB30_54:
	s_or_b32 exec_lo, exec_lo, s18
.LBB30_55:
	s_delay_alu instid0(SALU_CYCLE_1) | instskip(SKIP_1) | instid1(VALU_DEP_1)
	s_or_b32 exec_lo, exec_lo, s14
	v_mbcnt_lo_u32_b32 v5, -1, 0
	v_cmp_gt_u32_e32 vcc_lo, 16, v5
	v_cndmask_b32_e64 v1, 0, 1, vcc_lo
	v_cmp_gt_u32_e32 vcc_lo, 24, v5
	s_delay_alu instid0(VALU_DEP_2) | instskip(SKIP_2) | instid1(VALU_DEP_3)
	v_lshlrev_b32_e32 v1, 4, v1
	v_cndmask_b32_e64 v2, 0, 1, vcc_lo
	v_cmp_gt_u32_e32 vcc_lo, 28, v5
	v_add_lshl_u32 v1, v1, v5, 2
	s_delay_alu instid0(VALU_DEP_3)
	v_lshlrev_b32_e32 v2, 3, v2
	ds_bpermute_b32 v3, v1, v26
	v_add_lshl_u32 v2, v2, v5, 2
	s_waitcnt lgkmcnt(0)
	v_add_f32_e32 v4, v26, v3
	v_cndmask_b32_e64 v3, 0, 1, vcc_lo
	v_cmp_gt_u32_e32 vcc_lo, 30, v5
	ds_bpermute_b32 v6, v2, v4
	s_waitcnt lgkmcnt(0)
	v_dual_add_f32 v6, v4, v6 :: v_dual_lshlrev_b32 v3, 2, v3
	s_delay_alu instid0(VALU_DEP_1) | instskip(SKIP_4) | instid1(VALU_DEP_1)
	v_add_lshl_u32 v3, v3, v5, 2
	v_cndmask_b32_e64 v4, 0, 1, vcc_lo
	v_cmp_ne_u32_e32 vcc_lo, 31, v5
	ds_bpermute_b32 v7, v3, v6
	v_lshlrev_b32_e32 v4, 1, v4
	v_add_lshl_u32 v4, v4, v5, 2
	v_add_co_ci_u32_e32 v5, vcc_lo, 0, v5, vcc_lo
	s_waitcnt lgkmcnt(0)
	s_delay_alu instid0(VALU_DEP_1)
	v_dual_add_f32 v6, v6, v7 :: v_dual_lshlrev_b32 v5, 2, v5
	ds_bpermute_b32 v7, v4, v6
	s_waitcnt lgkmcnt(0)
	v_add_f32_e32 v8, v6, v7
	v_and_b32_e32 v6, 31, v0
	v_lshrrev_b32_e32 v7, 3, v0
	ds_bpermute_b32 v9, v5, v8
	v_cmp_eq_u32_e64 s1, 0, v6
	s_delay_alu instid0(VALU_DEP_1)
	s_and_saveexec_b32 s0, s1
	s_cbranch_execz .LBB30_57
; %bb.56:
	s_waitcnt lgkmcnt(0)
	v_add_f32_e32 v8, v8, v9
	ds_store_b32 v7, v8
.LBB30_57:
	s_or_b32 exec_lo, exec_lo, s0
	s_add_i32 s4, s4, 31
	v_lshlrev_b32_e32 v6, 2, v6
	s_lshr_b32 s0, s4, 5
	v_mov_b32_e32 v8, 0
	v_cmp_gt_u32_e64 s0, s0, v0
	s_waitcnt lgkmcnt(0)
	s_barrier
	buffer_gl0_inv
	s_and_saveexec_b32 s2, s0
	s_cbranch_execz .LBB30_59
; %bb.58:
	ds_load_b32 v8, v6
.LBB30_59:
	s_or_b32 exec_lo, exec_lo, s2
	v_cmp_gt_u32_e64 s2, 32, v0
	s_delay_alu instid0(VALU_DEP_1)
	s_and_saveexec_b32 s3, s2
	s_cbranch_execz .LBB30_61
; %bb.60:
	s_waitcnt lgkmcnt(0)
	ds_bpermute_b32 v9, v1, v8
	s_waitcnt lgkmcnt(0)
	v_add_f32_e32 v8, v8, v9
	ds_bpermute_b32 v9, v2, v8
	s_waitcnt lgkmcnt(0)
	v_add_f32_e32 v8, v8, v9
	;; [unrolled: 3-line block ×5, first 2 shown]
.LBB30_61:
	s_or_b32 exec_lo, exec_lo, s3
	v_cmp_eq_u32_e64 s3, 0, v0
	s_lshr_b32 s7, s10, 2
	s_cmp_lg_u32 s11, 0
	s_mov_b32 s5, 0
	s_cselect_b32 s6, -1, 0
	s_and_saveexec_b32 s10, s3
	s_cbranch_execz .LBB30_65
; %bb.62:
	s_add_i32 s4, s7, s13
	s_delay_alu instid0(SALU_CYCLE_1) | instskip(NEXT) | instid1(SALU_CYCLE_1)
	s_lshl_b64 s[4:5], s[4:5], 2
	s_add_u32 s4, s8, s4
	s_addc_u32 s5, s9, s5
	s_and_not1_b32 vcc_lo, exec_lo, s6
	s_cbranch_vccnz .LBB30_64
; %bb.63:
	s_load_b32 s11, s[4:5], 0x0
	s_waitcnt lgkmcnt(0)
	v_add_f32_e32 v8, s11, v8
.LBB30_64:
	v_mov_b32_e32 v0, 0
	s_waitcnt lgkmcnt(0)
	global_store_b32 v0, v8, s[4:5]
.LBB30_65:
	s_or_b32 exec_lo, exec_lo, s10
	ds_bpermute_b32 v0, v1, v23
	s_waitcnt lgkmcnt(0)
	s_waitcnt_vscnt null, 0x0
	s_barrier
	buffer_gl0_inv
	v_add_f32_e32 v0, v23, v0
	ds_bpermute_b32 v8, v2, v0
	s_waitcnt lgkmcnt(0)
	v_add_f32_e32 v0, v0, v8
	ds_bpermute_b32 v8, v3, v0
	s_waitcnt lgkmcnt(0)
	;; [unrolled: 3-line block ×3, first 2 shown]
	v_add_f32_e32 v0, v0, v8
	ds_bpermute_b32 v8, v5, v0
	s_and_saveexec_b32 s4, s1
	s_cbranch_execz .LBB30_67
; %bb.66:
	s_waitcnt lgkmcnt(0)
	v_add_f32_e32 v0, v0, v8
	ds_store_b32 v7, v0
.LBB30_67:
	s_or_b32 exec_lo, exec_lo, s4
	v_mov_b32_e32 v0, 0
	s_waitcnt lgkmcnt(0)
	s_barrier
	buffer_gl0_inv
	s_and_saveexec_b32 s1, s0
	s_cbranch_execnz .LBB30_70
; %bb.68:
	s_or_b32 exec_lo, exec_lo, s1
	s_and_saveexec_b32 s0, s2
	s_cbranch_execnz .LBB30_71
.LBB30_69:
	s_or_b32 exec_lo, exec_lo, s0
	s_and_saveexec_b32 s2, s3
	s_cbranch_execnz .LBB30_72
	s_branch .LBB30_76
.LBB30_70:
	ds_load_b32 v0, v6
	s_or_b32 exec_lo, exec_lo, s1
	s_and_saveexec_b32 s0, s2
	s_cbranch_execz .LBB30_69
.LBB30_71:
	s_waitcnt lgkmcnt(0)
	ds_bpermute_b32 v1, v1, v0
	s_waitcnt lgkmcnt(0)
	v_add_f32_e32 v0, v0, v1
	ds_bpermute_b32 v1, v2, v0
	s_waitcnt lgkmcnt(0)
	v_add_f32_e32 v0, v0, v1
	ds_bpermute_b32 v1, v3, v0
	s_waitcnt lgkmcnt(0)
	v_add_f32_e32 v0, v0, v1
	ds_bpermute_b32 v1, v4, v0
	s_waitcnt lgkmcnt(0)
	v_add_f32_e32 v0, v0, v1
	ds_bpermute_b32 v1, v5, v0
	s_waitcnt lgkmcnt(0)
	v_add_f32_e32 v0, v0, v1
	s_or_b32 exec_lo, exec_lo, s0
	s_and_saveexec_b32 s2, s3
	s_cbranch_execz .LBB30_76
.LBB30_72:
	s_or_b32 s0, s13, 1
	s_delay_alu instid0(SALU_CYCLE_1)
	s_cmp_ge_u32 s0, s12
	s_cbranch_scc1 .LBB30_76
; %bb.73:
	s_add_i32 s0, s7, s0
	s_mov_b32 s1, 0
	s_delay_alu instid0(SALU_CYCLE_1) | instskip(NEXT) | instid1(SALU_CYCLE_1)
	s_lshl_b64 s[0:1], s[0:1], 2
	s_add_u32 s0, s8, s0
	s_addc_u32 s1, s9, s1
	s_and_not1_b32 vcc_lo, exec_lo, s6
	s_cbranch_vccnz .LBB30_75
; %bb.74:
	v_mov_b32_e32 v1, 0
	global_load_b32 v1, v1, s[0:1]
	s_waitcnt vmcnt(0) lgkmcnt(0)
	v_add_f32_e32 v0, v0, v1
.LBB30_75:
	v_mov_b32_e32 v1, 0
	s_waitcnt lgkmcnt(0)
	global_store_b32 v1, v0, s[0:1]
.LBB30_76:
	s_or_b32 exec_lo, exec_lo, s2
	s_waitcnt lgkmcnt(0)
	s_waitcnt_vscnt null, 0x0
	s_barrier
	buffer_gl0_inv
.LBB30_77:
	s_endpgm
	.section	.rodata,"a",@progbits
	.p2align	6, 0x0
	.amdhsa_kernel dmmv_q4k_mr2
		.amdhsa_group_segment_fixed_size 128
		.amdhsa_private_segment_fixed_size 0
		.amdhsa_kernarg_size 304
		.amdhsa_user_sgpr_count 15
		.amdhsa_user_sgpr_dispatch_ptr 0
		.amdhsa_user_sgpr_queue_ptr 0
		.amdhsa_user_sgpr_kernarg_segment_ptr 1
		.amdhsa_user_sgpr_dispatch_id 0
		.amdhsa_user_sgpr_private_segment_size 0
		.amdhsa_wavefront_size32 1
		.amdhsa_uses_dynamic_stack 0
		.amdhsa_enable_private_segment 0
		.amdhsa_system_sgpr_workgroup_id_x 1
		.amdhsa_system_sgpr_workgroup_id_y 0
		.amdhsa_system_sgpr_workgroup_id_z 0
		.amdhsa_system_sgpr_workgroup_info 0
		.amdhsa_system_vgpr_workitem_id 0
		.amdhsa_next_free_vgpr 60
		.amdhsa_next_free_sgpr 24
		.amdhsa_reserve_vcc 1
		.amdhsa_float_round_mode_32 0
		.amdhsa_float_round_mode_16_64 0
		.amdhsa_float_denorm_mode_32 3
		.amdhsa_float_denorm_mode_16_64 3
		.amdhsa_dx10_clamp 1
		.amdhsa_ieee_mode 1
		.amdhsa_fp16_overflow 0
		.amdhsa_workgroup_processor_mode 1
		.amdhsa_memory_ordered 1
		.amdhsa_forward_progress 0
		.amdhsa_shared_vgpr_count 0
		.amdhsa_exception_fp_ieee_invalid_op 0
		.amdhsa_exception_fp_denorm_src 0
		.amdhsa_exception_fp_ieee_div_zero 0
		.amdhsa_exception_fp_ieee_overflow 0
		.amdhsa_exception_fp_ieee_underflow 0
		.amdhsa_exception_fp_ieee_inexact 0
		.amdhsa_exception_int_div_zero 0
	.end_amdhsa_kernel
	.text
.Lfunc_end30:
	.size	dmmv_q4k_mr2, .Lfunc_end30-dmmv_q4k_mr2
                                        ; -- End function
	.section	.AMDGPU.csdata,"",@progbits
; Kernel info:
; codeLenInByte = 3960
; NumSgprs: 26
; NumVgprs: 60
; ScratchSize: 0
; MemoryBound: 0
; FloatMode: 240
; IeeeMode: 1
; LDSByteSize: 128 bytes/workgroup (compile time only)
; SGPRBlocks: 3
; VGPRBlocks: 7
; NumSGPRsForWavesPerEU: 26
; NumVGPRsForWavesPerEU: 60
; Occupancy: 16
; WaveLimiterHint : 1
; COMPUTE_PGM_RSRC2:SCRATCH_EN: 0
; COMPUTE_PGM_RSRC2:USER_SGPR: 15
; COMPUTE_PGM_RSRC2:TRAP_HANDLER: 0
; COMPUTE_PGM_RSRC2:TGID_X_EN: 1
; COMPUTE_PGM_RSRC2:TGID_Y_EN: 0
; COMPUTE_PGM_RSRC2:TGID_Z_EN: 0
; COMPUTE_PGM_RSRC2:TIDIG_COMP_CNT: 0
	.text
	.protected	dmmv_q4k_mr4            ; -- Begin function dmmv_q4k_mr4
	.globl	dmmv_q4k_mr4
	.p2align	8
	.type	dmmv_q4k_mr4,@function
dmmv_q4k_mr4:                           ; @dmmv_q4k_mr4
; %bb.0:
	s_load_b32 s14, s[0:1], 0x18
	s_add_u32 s4, s0, 24
	s_addc_u32 s5, s1, 0
	s_lshl_b32 s18, s15, 2
	s_waitcnt lgkmcnt(0)
	s_cmp_ge_u32 s18, s14
	s_cbranch_scc1 .LBB31_151
; %bb.1:
	s_clause 0x4
	s_load_b128 s[8:11], s[0:1], 0x1c
	s_load_b64 s[12:13], s[0:1], 0x10
	s_load_b32 s19, s[0:1], 0x3c
	s_load_b128 s[0:3], s[0:1], 0x0
	s_load_b64 s[16:17], s[4:5], 0x10
	s_mov_b32 s4, 0
	v_lshrrev_b32_e32 v25, 4, v0
	s_mov_b32 s5, s4
	s_mov_b32 s6, s4
	;; [unrolled: 1-line block ×3, first 2 shown]
	v_dual_mov_b32 v1, s4 :: v_dual_mov_b32 v2, s5
	v_dual_mov_b32 v3, s6 :: v_dual_mov_b32 v4, s7
	s_waitcnt lgkmcnt(0)
	s_lshr_b32 s11, s8, 8
	s_and_b32 s8, s19, 0xffff
	s_mov_b32 s19, exec_lo
	v_cmpx_gt_u32_e64 s11, v25
	s_cbranch_execz .LBB31_107
; %bb.2:
	v_lshlrev_b32_e32 v1, 3, v0
	v_bfe_u32 v2, v0, 3, 1
	s_and_b32 s20, s10, -4
	s_lshr_b32 s10, s8, 4
	v_dual_mov_b32 v22, 0 :: v_dual_and_b32 v3, 4, v0
	v_and_b32_e32 v1, 24, v1
	v_lshlrev_b32_e32 v4, 5, v2
	s_add_u32 s2, s2, s20
	s_addc_u32 s3, s3, 0
	s_lshr_b32 s25, s9, 2
	s_or_b32 s9, s18, 1
	v_or3_b32 v4, v4, v1, v3
	s_cmp_lt_u32 s9, s14
	v_lshlrev_b32_e32 v5, 6, v2
	s_cselect_b32 s9, -1, 0
	s_or_b32 s20, s18, 2
	v_lshrrev_b32_e32 v4, 2, v4
	s_cmp_lt_u32 s20, s14
	v_lshlrev_b32_e32 v26, 4, v2
	s_cselect_b32 s20, -1, 0
	s_or_b32 s21, s18, 3
	v_add_nc_u32_e32 v4, s25, v4
	s_cmp_lt_u32 s21, s14
	v_lshl_or_b32 v2, v25, 8, v5
	s_cselect_b32 s21, -1, 0
	s_add_i32 s22, s18, 1
	s_add_i32 s24, s18, 2
	s_add_i32 s26, s18, 3
	s_mul_i32 s22, s11, s22
	s_mul_i32 s24, s11, s24
	;; [unrolled: 1-line block ×8, first 2 shown]
	v_add_nc_u32_e32 v28, s23, v4
	v_add_nc_u32_e32 v29, s24, v4
	v_add_nc_u32_e32 v30, s26, v4
	v_add_nc_u32_e32 v31, s27, v4
	v_or3_b32 v32, v2, v1, v3
	v_mov_b32_e32 v1, s4
	v_mul_u32_u24_e32 v27, 36, v25
	v_dual_mov_b32 v2, s5 :: v_dual_mov_b32 v3, s6
	v_mov_b32_e32 v4, s7
	s_mul_i32 s22, s10, 36
	s_add_i32 s23, s25, s23
	s_add_i32 s24, s25, s24
	;; [unrolled: 1-line block ×4, first 2 shown]
	s_lshl_b32 s6, s10, 8
	s_brev_b32 s7, 1
	s_branch .LBB31_7
.LBB31_3:                               ;   in Loop: Header=BB31_7 Depth=1
	s_or_b32 exec_lo, exec_lo, s27
.LBB31_4:                               ;   in Loop: Header=BB31_7 Depth=1
	s_delay_alu instid0(SALU_CYCLE_1)
	s_or_b32 exec_lo, exec_lo, s26
.LBB31_5:                               ;   in Loop: Header=BB31_7 Depth=1
	s_delay_alu instid0(SALU_CYCLE_1) | instskip(SKIP_4) | instid1(VALU_DEP_4)
	s_or_b32 exec_lo, exec_lo, s25
	v_dual_mov_b32 v34, v22 :: v_dual_add_nc_u32 v33, 1, v21
	v_dual_mov_b32 v36, v22 :: v_dual_add_nc_u32 v35, 2, v21
	v_add_nc_u32_e32 v21, 3, v21
	v_add_nc_u32_e32 v39, v27, v30
	v_lshlrev_b64 v[33:34], 2, v[33:34]
	s_delay_alu instid0(VALU_DEP_4) | instskip(NEXT) | instid1(VALU_DEP_4)
	v_lshlrev_b64 v[35:36], 2, v[35:36]
	v_lshlrev_b64 v[37:38], 2, v[21:22]
	s_delay_alu instid0(VALU_DEP_3) | instskip(NEXT) | instid1(VALU_DEP_4)
	v_add_co_u32 v33, vcc_lo, s0, v33
	v_add_co_ci_u32_e32 v34, vcc_lo, s1, v34, vcc_lo
	s_delay_alu instid0(VALU_DEP_4)
	v_add_co_u32 v35, vcc_lo, s0, v35
	v_add_co_ci_u32_e32 v36, vcc_lo, s1, v36, vcc_lo
	s_clause 0x1
	global_load_b32 v40, v[33:34], off
	global_load_b32 v35, v[35:36], off
	v_add_co_u32 v37, vcc_lo, s0, v37
	v_add_co_ci_u32_e32 v38, vcc_lo, s1, v38, vcc_lo
	global_load_b32 v36, v[37:38], off
	s_waitcnt vmcnt(2)
	v_lshrrev_b32_e32 v38, v26, v40
	s_delay_alu instid0(VALU_DEP_1) | instskip(SKIP_2) | instid1(VALU_DEP_2)
	v_lshrrev_b32_e32 v41, 2, v38
	s_waitcnt vmcnt(0)
	v_lshrrev_b32_e32 v36, v26, v36
	v_and_b32_e32 v41, 48, v41
	s_delay_alu instid0(VALU_DEP_2) | instskip(SKIP_2) | instid1(VALU_DEP_4)
	v_lshrrev_b32_e32 v42, 4, v36
	v_lshrrev_b32_e32 v44, 8, v36
	v_lshrrev_b32_e32 v45, 12, v36
	v_and_or_b32 v36, v36, 15, v41
	s_delay_alu instid0(VALU_DEP_1) | instskip(NEXT) | instid1(VALU_DEP_1)
	v_cvt_f32_ubyte0_e32 v36, v36
	v_dual_mul_f32 v36, v23, v36 :: v_dual_add_nc_u32 v21, 4, v39
	s_delay_alu instid0(VALU_DEP_1) | instskip(SKIP_3) | instid1(VALU_DEP_4)
	v_lshlrev_b64 v[33:34], 2, v[21:22]
	v_add_nc_u32_e32 v21, 20, v39
	v_bfe_u32 v39, v38, 8, 6
	v_lshrrev_b32_e32 v38, 10, v38
	v_add_co_u32 v33, vcc_lo, s0, v33
	v_add_co_ci_u32_e32 v34, vcc_lo, s1, v34, vcc_lo
	s_delay_alu instid0(VALU_DEP_4) | instskip(NEXT) | instid1(VALU_DEP_4)
	v_cvt_f32_ubyte0_e32 v39, v39
	v_and_b32_e32 v38, 48, v38
	global_load_b32 v37, v[33:34], off
	v_lshlrev_b64 v[33:34], 2, v[21:22]
	v_mul_f32_e32 v39, v23, v39
	v_and_or_b32 v38, v44, 15, v38
	s_delay_alu instid0(VALU_DEP_3) | instskip(NEXT) | instid1(VALU_DEP_4)
	v_add_co_u32 v33, vcc_lo, s0, v33
	v_add_co_ci_u32_e32 v34, vcc_lo, s1, v34, vcc_lo
	s_delay_alu instid0(VALU_DEP_3) | instskip(SKIP_4) | instid1(VALU_DEP_3)
	v_cvt_f32_ubyte0_e32 v38, v38
	global_load_b32 v21, v[33:34], off
	v_bfe_u32 v33, v40, v26, 6
	v_bfe_u32 v34, v35, v26, 6
	v_lshrrev_b32_e32 v35, v26, v35
	v_cvt_f32_ubyte0_e32 v33, v33
	s_delay_alu instid0(VALU_DEP_3) | instskip(NEXT) | instid1(VALU_DEP_3)
	v_cvt_f32_ubyte0_e32 v34, v34
	v_lshrrev_b32_e32 v43, 2, v35
	v_bfe_u32 v40, v35, 8, 6
	v_lshrrev_b32_e32 v35, 10, v35
	s_delay_alu instid0(VALU_DEP_4) | instskip(NEXT) | instid1(VALU_DEP_4)
	v_dual_mul_f32 v33, v23, v33 :: v_dual_mul_f32 v34, v24, v34
	v_and_b32_e32 v43, 48, v43
	s_delay_alu instid0(VALU_DEP_4) | instskip(NEXT) | instid1(VALU_DEP_2)
	v_cvt_f32_ubyte0_e32 v40, v40
	v_and_or_b32 v41, v42, 15, v43
	s_delay_alu instid0(VALU_DEP_2) | instskip(NEXT) | instid1(VALU_DEP_2)
	v_mul_f32_e32 v40, v24, v40
	v_cvt_f32_ubyte0_e32 v41, v41
	s_waitcnt vmcnt(1)
	v_bfe_u32 v47, v37, 8, 4
	v_and_b32_e32 v46, 15, v37
	v_bfe_u32 v48, v37, 16, 4
	v_bfe_u32 v50, v37, 4, 4
	;; [unrolled: 1-line block ×3, first 2 shown]
	v_cvt_f32_ubyte0_e32 v47, v47
	v_cvt_f32_ubyte0_e32 v46, v46
	;; [unrolled: 1-line block ×5, first 2 shown]
	v_fma_f32 v43, v33, v47, -v34
	v_fma_f32 v42, v33, v46, -v34
	;; [unrolled: 1-line block ×3, first 2 shown]
	v_bfe_u32 v49, v37, 24, 4
	s_waitcnt vmcnt(0)
	v_bfe_u32 v54, v21, 8, 4
	v_mul_f32_e32 v18, v18, v43
	v_fma_f32 v43, v39, v50, -v40
	v_fma_f32 v50, v39, v51, -v40
	v_cvt_f32_ubyte0_e32 v49, v49
	v_bfe_u32 v55, v21, 16, 4
	v_dual_fmac_f32 v18, v17, v42 :: v_dual_and_b32 v35, 48, v35
	s_delay_alu instid0(VALU_DEP_4) | instskip(NEXT) | instid1(VALU_DEP_4)
	v_dual_mul_f32 v14, v14, v50 :: v_dual_mul_f32 v17, v24, v41
	v_fma_f32 v33, v33, v49, -v34
	s_delay_alu instid0(VALU_DEP_3) | instskip(NEXT) | instid1(VALU_DEP_4)
	v_fmac_f32_e32 v18, v19, v44
	v_and_or_b32 v35, v45, 15, v35
	s_delay_alu instid0(VALU_DEP_4)
	v_fmac_f32_e32 v14, v13, v43
	v_cvt_f32_ubyte0_e32 v45, v54
	v_bfe_u32 v52, v37, 20, 4
	v_bfe_u32 v56, v21, 24, 4
	v_cvt_f32_ubyte0_e32 v35, v35
	v_and_b32_e32 v53, 15, v21
	v_fma_f32 v19, v36, v45, -v17
	v_bfe_u32 v58, v21, 12, 4
	v_cvt_f32_ubyte0_e32 v46, v55
	v_mul_f32_e32 v24, v24, v35
	v_cvt_f32_ubyte0_e32 v34, v53
	v_dual_mul_f32 v23, v23, v38 :: v_dual_mul_f32 v10, v10, v19
	v_lshrrev_b32_e32 v37, 28, v37
	v_cvt_f32_ubyte0_e32 v52, v52
	s_delay_alu instid0(VALU_DEP_4)
	v_fma_f32 v13, v36, v34, -v17
	v_bfe_u32 v57, v21, 4, 4
	v_cvt_f32_ubyte0_e32 v47, v56
	v_cvt_f32_ubyte0_e32 v49, v58
	v_fma_f32 v34, v36, v46, -v17
	v_fmac_f32_e32 v10, v9, v13
	v_cvt_f32_ubyte0_e32 v37, v37
	v_bfe_u32 v59, v21, 20, 4
	v_cvt_f32_ubyte0_e32 v48, v57
	v_fma_f32 v51, v39, v52, -v40
	v_fma_f32 v17, v36, v47, -v17
	;; [unrolled: 1-line block ×3, first 2 shown]
	v_fmac_f32_e32 v10, v11, v34
	v_lshrrev_b32_e32 v21, 28, v21
	v_cvt_f32_ubyte0_e32 v53, v59
	v_fma_f32 v37, v39, v37, -v40
	v_fma_f32 v35, v23, v48, -v24
	v_mul_f32_e32 v6, v6, v19
	v_fmac_f32_e32 v10, v12, v17
	v_fmac_f32_e32 v18, v20, v33
	;; [unrolled: 1-line block ×3, first 2 shown]
	v_cvt_f32_ubyte0_e32 v21, v21
	v_fma_f32 v9, v23, v53, -v24
	s_delay_alu instid0(VALU_DEP_4) | instskip(NEXT) | instid1(VALU_DEP_4)
	v_dual_fmac_f32 v6, v5, v35 :: v_dual_add_f32 v13, 0, v18
	v_fmac_f32_e32 v14, v16, v37
	s_delay_alu instid0(VALU_DEP_4) | instskip(NEXT) | instid1(VALU_DEP_3)
	v_fma_f32 v5, v23, v21, -v24
	v_fmac_f32_e32 v6, v7, v9
	s_delay_alu instid0(VALU_DEP_3) | instskip(NEXT) | instid1(VALU_DEP_1)
	v_add_f32_e32 v11, v14, v13
	v_dual_fmac_f32 v6, v8, v5 :: v_dual_add_f32 v7, v10, v11
	s_delay_alu instid0(VALU_DEP_1) | instskip(NEXT) | instid1(VALU_DEP_1)
	v_add_f32_e32 v5, v6, v7
	v_add_f32_e32 v4, v4, v5
.LBB31_6:                               ;   in Loop: Header=BB31_7 Depth=1
	v_add_nc_u32_e32 v25, s10, v25
	v_add_nc_u32_e32 v28, s22, v28
	;; [unrolled: 1-line block ×5, first 2 shown]
	v_cmp_le_u32_e32 vcc_lo, s11, v25
	v_add_nc_u32_e32 v32, s6, v32
	s_add_i32 s23, s23, s22
	s_add_i32 s24, s24, s22
	;; [unrolled: 1-line block ×4, first 2 shown]
	s_or_b32 s4, vcc_lo, s4
	s_delay_alu instid0(SALU_CYCLE_1)
	s_and_not1_b32 exec_lo, exec_lo, s4
	s_cbranch_execz .LBB31_106
.LBB31_7:                               ; =>This Inner Loop Header: Depth=1
	v_dual_mov_b32 v24, v22 :: v_dual_add_nc_u32 v23, s5, v27
	v_lshrrev_b32_e32 v21, 2, v32
	s_mov_b32 s25, exec_lo
	s_delay_alu instid0(VALU_DEP_2) | instskip(NEXT) | instid1(VALU_DEP_2)
	v_lshlrev_b64 v[5:6], 2, v[23:24]
	v_lshlrev_b64 v[7:8], 4, v[21:22]
                                        ; implicit-def: $vgpr24
	s_delay_alu instid0(VALU_DEP_2) | instskip(NEXT) | instid1(VALU_DEP_3)
	v_add_co_u32 v5, vcc_lo, s0, v5
	v_add_co_ci_u32_e32 v6, vcc_lo, s1, v6, vcc_lo
	global_load_b32 v21, v[5:6], off
	v_add_co_u32 v5, vcc_lo, s2, v7
	v_add_co_ci_u32_e32 v6, vcc_lo, s3, v8, vcc_lo
	s_clause 0x3
	global_load_b128 v[17:20], v[5:6], off
	global_load_b128 v[13:16], v[5:6], off offset:128
	global_load_b128 v[9:12], v[5:6], off offset:512
	;; [unrolled: 1-line block ×3, first 2 shown]
	s_waitcnt vmcnt(4)
	v_bfe_u32 v34, v21, 10, 5
	v_bfe_u32 v33, v21, 15, 1
	s_delay_alu instid0(VALU_DEP_2)
	v_cmpx_lt_i32_e32 30, v34
	s_xor_b32 s25, exec_lo, s25
; %bb.8:                                ;   in Loop: Header=BB31_7 Depth=1
	v_and_b32_e32 v24, 0xffff, v21
	s_delay_alu instid0(VALU_DEP_3) | instskip(NEXT) | instid1(VALU_DEP_2)
	v_lshlrev_b32_e32 v33, 31, v33
                                        ; implicit-def: $vgpr34
	v_lshlrev_b32_e32 v24, 13, v24
	s_delay_alu instid0(VALU_DEP_1)
	v_or3_b32 v24, v33, v24, 0x7f800000
                                        ; implicit-def: $vgpr33
; %bb.9:                                ;   in Loop: Header=BB31_7 Depth=1
	s_and_not1_saveexec_b32 s25, s25
	s_cbranch_execz .LBB31_19
; %bb.10:                               ;   in Loop: Header=BB31_7 Depth=1
	v_and_b32_e32 v35, 0x3ff, v21
	s_mov_b32 s26, exec_lo
                                        ; implicit-def: $vgpr24
	v_cmpx_ne_u32_e32 0, v34
	s_xor_b32 s26, exec_lo, s26
; %bb.11:                               ;   in Loop: Header=BB31_7 Depth=1
	v_lshlrev_b32_e32 v24, 31, v33
	v_lshlrev_b32_e32 v33, 23, v34
	;; [unrolled: 1-line block ×3, first 2 shown]
                                        ; implicit-def: $vgpr35
	s_delay_alu instid0(VALU_DEP_1) | instskip(NEXT) | instid1(VALU_DEP_1)
	v_or3_b32 v24, v33, v24, v34
                                        ; implicit-def: $vgpr33
	v_add_nc_u32_e32 v24, 0x38000000, v24
; %bb.12:                               ;   in Loop: Header=BB31_7 Depth=1
	s_and_not1_saveexec_b32 s26, s26
	s_cbranch_execz .LBB31_18
; %bb.13:                               ;   in Loop: Header=BB31_7 Depth=1
	s_mov_b32 s27, exec_lo
                                        ; implicit-def: $vgpr24
	v_cmpx_ne_u32_e32 0, v35
	s_xor_b32 s27, exec_lo, s27
; %bb.14:                               ;   in Loop: Header=BB31_7 Depth=1
	v_clz_i32_u32_e32 v24, v35
	v_lshl_or_b32 v33, v33, 31, 0x43000000
	s_delay_alu instid0(VALU_DEP_2) | instskip(SKIP_1) | instid1(VALU_DEP_2)
	v_xor_b32_e32 v34, 31, v24
	v_lshlrev_b32_e32 v24, 23, v24
	v_sub_nc_u32_e32 v34, 9, v34
	s_delay_alu instid0(VALU_DEP_2) | instskip(NEXT) | instid1(VALU_DEP_2)
	v_sub_nc_u32_e32 v24, v33, v24
                                        ; implicit-def: $vgpr33
	v_lshlrev_b32_e32 v34, v34, v21
	s_delay_alu instid0(VALU_DEP_1) | instskip(NEXT) | instid1(VALU_DEP_1)
	v_lshlrev_b32_e32 v34, 14, v34
	v_and_or_b32 v24, 0x7fc000, v34, v24
; %bb.15:                               ;   in Loop: Header=BB31_7 Depth=1
	s_and_not1_saveexec_b32 s27, s27
; %bb.16:                               ;   in Loop: Header=BB31_7 Depth=1
	v_lshlrev_b32_e32 v24, 31, v33
; %bb.17:                               ;   in Loop: Header=BB31_7 Depth=1
	s_or_b32 exec_lo, exec_lo, s27
.LBB31_18:                              ;   in Loop: Header=BB31_7 Depth=1
	s_delay_alu instid0(SALU_CYCLE_1)
	s_or_b32 exec_lo, exec_lo, s26
.LBB31_19:                              ;   in Loop: Header=BB31_7 Depth=1
	s_delay_alu instid0(SALU_CYCLE_1) | instskip(SKIP_3) | instid1(VALU_DEP_2)
	s_or_b32 exec_lo, exec_lo, s25
	v_bfe_u32 v35, v21, 26, 5
	v_lshrrev_b32_e32 v34, 16, v21
	s_mov_b32 s25, exec_lo
                                        ; implicit-def: $vgpr33
	v_cmpx_lt_i32_e32 30, v35
	s_xor_b32 s25, exec_lo, s25
; %bb.20:                               ;   in Loop: Header=BB31_7 Depth=1
	v_and_b32_e32 v21, 0x80000000, v21
	v_lshlrev_b32_e32 v33, 13, v34
                                        ; implicit-def: $vgpr34
                                        ; implicit-def: $vgpr35
	s_delay_alu instid0(VALU_DEP_1)
	v_or3_b32 v33, v33, v21, 0x7f800000
                                        ; implicit-def: $vgpr21
; %bb.21:                               ;   in Loop: Header=BB31_7 Depth=1
	s_and_not1_saveexec_b32 s25, s25
	s_cbranch_execz .LBB31_31
; %bb.22:                               ;   in Loop: Header=BB31_7 Depth=1
	v_and_b32_e32 v36, 0x3ff, v34
	s_mov_b32 s26, exec_lo
                                        ; implicit-def: $vgpr33
	v_cmpx_ne_u32_e32 0, v35
	s_xor_b32 s26, exec_lo, s26
; %bb.23:                               ;   in Loop: Header=BB31_7 Depth=1
	v_and_b32_e32 v21, 0x80000000, v21
	v_lshlrev_b32_e32 v33, 23, v35
	v_lshlrev_b32_e32 v34, 13, v36
                                        ; implicit-def: $vgpr36
	s_delay_alu instid0(VALU_DEP_1) | instskip(NEXT) | instid1(VALU_DEP_1)
	v_or3_b32 v21, v33, v21, v34
                                        ; implicit-def: $vgpr34
	v_add_nc_u32_e32 v33, 0x38000000, v21
                                        ; implicit-def: $vgpr21
; %bb.24:                               ;   in Loop: Header=BB31_7 Depth=1
	s_and_not1_saveexec_b32 s26, s26
	s_cbranch_execz .LBB31_30
; %bb.25:                               ;   in Loop: Header=BB31_7 Depth=1
	s_mov_b32 s27, exec_lo
                                        ; implicit-def: $vgpr33
	v_cmpx_ne_u32_e32 0, v36
	s_xor_b32 s27, exec_lo, s27
; %bb.26:                               ;   in Loop: Header=BB31_7 Depth=1
	v_clz_i32_u32_e32 v33, v36
	v_and_or_b32 v21, v21, s7, 0x43000000
	s_delay_alu instid0(VALU_DEP_2) | instskip(SKIP_1) | instid1(VALU_DEP_2)
	v_xor_b32_e32 v35, 31, v33
	v_lshlrev_b32_e32 v33, 23, v33
	v_sub_nc_u32_e32 v35, 9, v35
	s_delay_alu instid0(VALU_DEP_2) | instskip(NEXT) | instid1(VALU_DEP_2)
	v_sub_nc_u32_e32 v21, v21, v33
	v_lshlrev_b32_e32 v34, v35, v34
	s_delay_alu instid0(VALU_DEP_1) | instskip(NEXT) | instid1(VALU_DEP_1)
	v_lshlrev_b32_e32 v34, 14, v34
	v_and_or_b32 v33, 0x7fc000, v34, v21
                                        ; implicit-def: $vgpr21
; %bb.27:                               ;   in Loop: Header=BB31_7 Depth=1
	s_and_not1_saveexec_b32 s27, s27
; %bb.28:                               ;   in Loop: Header=BB31_7 Depth=1
	v_and_b32_e32 v33, 0x80000000, v21
; %bb.29:                               ;   in Loop: Header=BB31_7 Depth=1
	s_or_b32 exec_lo, exec_lo, s27
.LBB31_30:                              ;   in Loop: Header=BB31_7 Depth=1
	s_delay_alu instid0(SALU_CYCLE_1)
	s_or_b32 exec_lo, exec_lo, s26
.LBB31_31:                              ;   in Loop: Header=BB31_7 Depth=1
	s_delay_alu instid0(SALU_CYCLE_1) | instskip(SKIP_1) | instid1(VALU_DEP_1)
	s_or_b32 exec_lo, exec_lo, s25
	v_add_nc_u32_e32 v21, 1, v23
	v_lshlrev_b64 v[34:35], 2, v[21:22]
	v_add_nc_u32_e32 v21, 2, v23
	s_delay_alu instid0(VALU_DEP_1) | instskip(SKIP_1) | instid1(VALU_DEP_4)
	v_lshlrev_b64 v[36:37], 2, v[21:22]
	v_add_nc_u32_e32 v21, 3, v23
	v_add_co_u32 v34, vcc_lo, s0, v34
	v_add_co_ci_u32_e32 v35, vcc_lo, s1, v35, vcc_lo
	s_delay_alu instid0(VALU_DEP_4) | instskip(NEXT) | instid1(VALU_DEP_4)
	v_add_co_u32 v36, vcc_lo, s0, v36
	v_lshlrev_b64 v[38:39], 2, v[21:22]
	v_add_co_ci_u32_e32 v37, vcc_lo, s1, v37, vcc_lo
	v_add_nc_u32_e32 v23, v27, v31
	s_clause 0x1
	global_load_b32 v40, v[34:35], off
	global_load_b32 v36, v[36:37], off
	v_add_co_u32 v34, vcc_lo, s0, v38
	v_add_co_ci_u32_e32 v35, vcc_lo, s1, v39, vcc_lo
	v_add_nc_u32_e32 v21, 4, v23
	global_load_b32 v37, v[34:35], off
	v_lshlrev_b64 v[34:35], 2, v[21:22]
	v_add_nc_u32_e32 v21, 20, v23
	s_delay_alu instid0(VALU_DEP_2) | instskip(NEXT) | instid1(VALU_DEP_3)
	v_add_co_u32 v34, vcc_lo, s0, v34
	v_add_co_ci_u32_e32 v35, vcc_lo, s1, v35, vcc_lo
	global_load_b32 v38, v[34:35], off
	v_lshlrev_b64 v[34:35], 2, v[21:22]
	s_delay_alu instid0(VALU_DEP_1) | instskip(NEXT) | instid1(VALU_DEP_2)
	v_add_co_u32 v34, vcc_lo, s0, v34
	v_add_co_ci_u32_e32 v35, vcc_lo, s1, v35, vcc_lo
	s_and_not1_b32 vcc_lo, exec_lo, s9
	global_load_b32 v21, v[34:35], off
	s_waitcnt vmcnt(4)
	v_bfe_u32 v23, v40, v26, 6
	v_lshrrev_b32_e32 v34, v26, v40
	s_waitcnt vmcnt(3)
	v_lshrrev_b32_e32 v35, v26, v36
	v_bfe_u32 v36, v36, v26, 6
	v_cvt_f32_ubyte0_e32 v23, v23
	v_lshrrev_b32_e32 v40, 2, v34
	s_delay_alu instid0(VALU_DEP_4)
	v_bfe_u32 v41, v35, 8, 6
	v_lshrrev_b32_e32 v42, 2, v35
	s_waitcnt vmcnt(2)
	v_lshrrev_b32_e32 v37, v26, v37
	v_bfe_u32 v39, v34, 8, 6
	v_lshrrev_b32_e32 v34, 10, v34
	v_dual_mul_f32 v23, v24, v23 :: v_dual_and_b32 v40, 48, v40
	v_cvt_f32_ubyte0_e32 v36, v36
	v_lshrrev_b32_e32 v35, 10, v35
	v_cvt_f32_ubyte0_e32 v41, v41
	v_lshrrev_b32_e32 v43, 4, v37
	v_and_b32_e32 v42, 48, v42
	v_cvt_f32_ubyte0_e32 v39, v39
	v_and_b32_e32 v34, 48, v34
	v_mul_f32_e32 v36, v33, v36
	v_and_or_b32 v40, v37, 15, v40
	v_lshrrev_b32_e32 v44, 8, v37
	v_mul_f32_e32 v39, v24, v39
	s_waitcnt vmcnt(1)
	v_bfe_u32 v46, v38, 8, 4
	v_lshrrev_b32_e32 v37, 12, v37
	v_and_b32_e32 v35, 48, v35
	v_and_b32_e32 v45, 15, v38
	v_bfe_u32 v47, v38, 16, 4
	v_bfe_u32 v48, v38, 24, 4
	;; [unrolled: 1-line block ×3, first 2 shown]
	v_mul_f32_e32 v41, v33, v41
	v_and_or_b32 v42, v43, 15, v42
	v_cvt_f32_ubyte0_e32 v43, v46
	v_bfe_u32 v49, v38, 4, 4
	v_and_or_b32 v34, v44, 15, v34
	v_and_or_b32 v35, v37, 15, v35
	v_cvt_f32_ubyte0_e32 v37, v45
	v_cvt_f32_ubyte0_e32 v44, v47
	;; [unrolled: 1-line block ×4, first 2 shown]
	v_fma_f32 v43, v23, v43, -v36
	v_bfe_u32 v51, v38, 20, 4
	v_cvt_f32_ubyte0_e32 v46, v49
	v_fma_f32 v37, v23, v37, -v36
	v_fma_f32 v44, v23, v44, -v36
	;; [unrolled: 1-line block ×4, first 2 shown]
	v_mul_f32_e32 v43, v18, v43
	v_lshrrev_b32_e32 v38, 28, v38
	v_cvt_f32_ubyte0_e32 v48, v51
	v_fma_f32 v36, v39, v46, -v41
	v_mul_f32_e32 v45, v14, v45
	v_fmac_f32_e32 v43, v17, v37
	v_cvt_f32_ubyte0_e32 v40, v40
	v_cvt_f32_ubyte0_e32 v38, v38
	s_waitcnt vmcnt(0)
	v_bfe_u32 v50, v21, 8, 4
	v_cvt_f32_ubyte0_e32 v42, v42
	v_fma_f32 v46, v39, v48, -v41
	v_fmac_f32_e32 v45, v13, v36
	v_fmac_f32_e32 v43, v19, v44
	v_bfe_u32 v54, v21, 12, 4
	v_mul_f32_e32 v40, v24, v40
	v_cvt_f32_ubyte0_e32 v34, v34
	v_cvt_f32_ubyte0_e32 v35, v35
	v_fma_f32 v38, v39, v38, -v41
	v_cvt_f32_ubyte0_e32 v41, v50
	v_mul_f32_e32 v42, v33, v42
	v_fmac_f32_e32 v45, v15, v46
	v_fmac_f32_e32 v43, v20, v23
	v_and_b32_e32 v49, 15, v21
	v_bfe_u32 v51, v21, 16, 4
	v_bfe_u32 v52, v21, 24, 4
	;; [unrolled: 1-line block ×3, first 2 shown]
	v_cvt_f32_ubyte0_e32 v50, v54
	v_dual_mul_f32 v24, v24, v34 :: v_dual_mul_f32 v33, v33, v35
	v_fma_f32 v34, v40, v41, -v42
	v_dual_fmac_f32 v45, v16, v38 :: v_dual_add_f32 v38, 0, v43
	v_cvt_f32_ubyte0_e32 v39, v49
	v_bfe_u32 v55, v21, 20, 4
	v_cvt_f32_ubyte0_e32 v47, v51
	v_cvt_f32_ubyte0_e32 v48, v52
	;; [unrolled: 1-line block ×3, first 2 shown]
	v_fma_f32 v35, v40, v39, -v42
	v_mul_f32_e32 v34, v10, v34
	v_fma_f32 v39, v24, v50, -v33
	v_lshrrev_b32_e32 v21, 28, v21
	v_cvt_f32_ubyte0_e32 v51, v55
	v_fma_f32 v36, v40, v47, -v42
	v_fma_f32 v37, v40, v48, -v42
	;; [unrolled: 1-line block ×3, first 2 shown]
	v_fmac_f32_e32 v34, v9, v35
	v_mul_f32_e32 v23, v6, v39
	v_cvt_f32_ubyte0_e32 v21, v21
	v_fma_f32 v35, v24, v51, -v33
	s_delay_alu instid0(VALU_DEP_4) | instskip(NEXT) | instid1(VALU_DEP_4)
	v_fmac_f32_e32 v34, v11, v36
	v_fmac_f32_e32 v23, v5, v40
	s_delay_alu instid0(VALU_DEP_4) | instskip(SKIP_1) | instid1(VALU_DEP_3)
	v_fma_f32 v21, v24, v21, -v33
	v_add_f32_e32 v24, v45, v38
	v_dual_fmac_f32 v34, v12, v37 :: v_dual_fmac_f32 v23, v7, v35
	s_delay_alu instid0(VALU_DEP_1) | instskip(NEXT) | instid1(VALU_DEP_1)
	v_dual_add_f32 v24, v34, v24 :: v_dual_fmac_f32 v23, v8, v21
	v_add_f32_e32 v21, v23, v24
	s_delay_alu instid0(VALU_DEP_1)
	v_add_f32_e32 v1, v1, v21
	s_cbranch_vccz .LBB31_34
; %bb.32:                               ;   in Loop: Header=BB31_7 Depth=1
	s_and_not1_b32 vcc_lo, exec_lo, s20
	s_cbranch_vccz .LBB31_59
.LBB31_33:                              ;   in Loop: Header=BB31_7 Depth=1
	s_and_not1_b32 vcc_lo, exec_lo, s21
	s_cbranch_vccnz .LBB31_6
	s_branch .LBB31_84
.LBB31_34:                              ;   in Loop: Header=BB31_7 Depth=1
	v_add_nc_u32_e32 v21, s23, v27
	s_mov_b32 s25, exec_lo
	s_delay_alu instid0(VALU_DEP_1) | instskip(NEXT) | instid1(VALU_DEP_1)
	v_lshlrev_b64 v[23:24], 2, v[21:22]
	v_add_co_u32 v23, vcc_lo, s0, v23
	s_delay_alu instid0(VALU_DEP_2) | instskip(SKIP_4) | instid1(VALU_DEP_2)
	v_add_co_ci_u32_e32 v24, vcc_lo, s1, v24, vcc_lo
	global_load_b32 v33, v[23:24], off
                                        ; implicit-def: $vgpr23
	s_waitcnt vmcnt(0)
	v_bfe_u32 v34, v33, 10, 5
	v_bfe_u32 v24, v33, 15, 1
	v_cmpx_lt_i32_e32 30, v34
	s_xor_b32 s25, exec_lo, s25
; %bb.35:                               ;   in Loop: Header=BB31_7 Depth=1
	v_and_b32_e32 v23, 0xffff, v33
	s_delay_alu instid0(VALU_DEP_3) | instskip(NEXT) | instid1(VALU_DEP_2)
	v_lshlrev_b32_e32 v24, 31, v24
                                        ; implicit-def: $vgpr34
	v_lshlrev_b32_e32 v23, 13, v23
	s_delay_alu instid0(VALU_DEP_1)
	v_or3_b32 v23, v24, v23, 0x7f800000
                                        ; implicit-def: $vgpr24
; %bb.36:                               ;   in Loop: Header=BB31_7 Depth=1
	s_and_not1_saveexec_b32 s25, s25
	s_cbranch_execz .LBB31_46
; %bb.37:                               ;   in Loop: Header=BB31_7 Depth=1
	v_and_b32_e32 v35, 0x3ff, v33
	s_mov_b32 s26, exec_lo
                                        ; implicit-def: $vgpr23
	v_cmpx_ne_u32_e32 0, v34
	s_xor_b32 s26, exec_lo, s26
; %bb.38:                               ;   in Loop: Header=BB31_7 Depth=1
	v_lshlrev_b32_e32 v23, 31, v24
	v_lshlrev_b32_e32 v24, 23, v34
	v_lshlrev_b32_e32 v34, 13, v35
                                        ; implicit-def: $vgpr35
	s_delay_alu instid0(VALU_DEP_1) | instskip(NEXT) | instid1(VALU_DEP_1)
	v_or3_b32 v23, v24, v23, v34
                                        ; implicit-def: $vgpr24
	v_add_nc_u32_e32 v23, 0x38000000, v23
; %bb.39:                               ;   in Loop: Header=BB31_7 Depth=1
	s_and_not1_saveexec_b32 s26, s26
	s_cbranch_execz .LBB31_45
; %bb.40:                               ;   in Loop: Header=BB31_7 Depth=1
	s_mov_b32 s27, exec_lo
                                        ; implicit-def: $vgpr23
	v_cmpx_ne_u32_e32 0, v35
	s_xor_b32 s27, exec_lo, s27
; %bb.41:                               ;   in Loop: Header=BB31_7 Depth=1
	v_clz_i32_u32_e32 v23, v35
	v_lshl_or_b32 v24, v24, 31, 0x43000000
	s_delay_alu instid0(VALU_DEP_2) | instskip(SKIP_1) | instid1(VALU_DEP_2)
	v_xor_b32_e32 v34, 31, v23
	v_lshlrev_b32_e32 v23, 23, v23
	v_sub_nc_u32_e32 v34, 9, v34
	s_delay_alu instid0(VALU_DEP_2) | instskip(NEXT) | instid1(VALU_DEP_2)
	v_sub_nc_u32_e32 v23, v24, v23
                                        ; implicit-def: $vgpr24
	v_lshlrev_b32_e32 v34, v34, v33
	s_delay_alu instid0(VALU_DEP_1) | instskip(NEXT) | instid1(VALU_DEP_1)
	v_lshlrev_b32_e32 v34, 14, v34
	v_and_or_b32 v23, 0x7fc000, v34, v23
; %bb.42:                               ;   in Loop: Header=BB31_7 Depth=1
	s_and_not1_saveexec_b32 s27, s27
; %bb.43:                               ;   in Loop: Header=BB31_7 Depth=1
	v_lshlrev_b32_e32 v23, 31, v24
; %bb.44:                               ;   in Loop: Header=BB31_7 Depth=1
	s_or_b32 exec_lo, exec_lo, s27
.LBB31_45:                              ;   in Loop: Header=BB31_7 Depth=1
	s_delay_alu instid0(SALU_CYCLE_1)
	s_or_b32 exec_lo, exec_lo, s26
.LBB31_46:                              ;   in Loop: Header=BB31_7 Depth=1
	s_delay_alu instid0(SALU_CYCLE_1) | instskip(SKIP_3) | instid1(VALU_DEP_2)
	s_or_b32 exec_lo, exec_lo, s25
	v_bfe_u32 v35, v33, 26, 5
	v_lshrrev_b32_e32 v34, 16, v33
	s_mov_b32 s25, exec_lo
                                        ; implicit-def: $vgpr24
	v_cmpx_lt_i32_e32 30, v35
	s_xor_b32 s25, exec_lo, s25
; %bb.47:                               ;   in Loop: Header=BB31_7 Depth=1
	v_and_b32_e32 v24, 0x80000000, v33
	v_lshlrev_b32_e32 v33, 13, v34
                                        ; implicit-def: $vgpr34
                                        ; implicit-def: $vgpr35
	s_delay_alu instid0(VALU_DEP_1)
	v_or3_b32 v24, v33, v24, 0x7f800000
                                        ; implicit-def: $vgpr33
; %bb.48:                               ;   in Loop: Header=BB31_7 Depth=1
	s_and_not1_saveexec_b32 s25, s25
	s_cbranch_execz .LBB31_58
; %bb.49:                               ;   in Loop: Header=BB31_7 Depth=1
	v_and_b32_e32 v36, 0x3ff, v34
	s_mov_b32 s26, exec_lo
                                        ; implicit-def: $vgpr24
	v_cmpx_ne_u32_e32 0, v35
	s_xor_b32 s26, exec_lo, s26
; %bb.50:                               ;   in Loop: Header=BB31_7 Depth=1
	v_and_b32_e32 v24, 0x80000000, v33
	v_lshlrev_b32_e32 v33, 23, v35
	v_lshlrev_b32_e32 v34, 13, v36
                                        ; implicit-def: $vgpr36
	s_delay_alu instid0(VALU_DEP_1) | instskip(NEXT) | instid1(VALU_DEP_1)
	v_or3_b32 v24, v33, v24, v34
                                        ; implicit-def: $vgpr33
                                        ; implicit-def: $vgpr34
	v_add_nc_u32_e32 v24, 0x38000000, v24
; %bb.51:                               ;   in Loop: Header=BB31_7 Depth=1
	s_and_not1_saveexec_b32 s26, s26
	s_cbranch_execz .LBB31_57
; %bb.52:                               ;   in Loop: Header=BB31_7 Depth=1
	s_mov_b32 s27, exec_lo
                                        ; implicit-def: $vgpr24
	v_cmpx_ne_u32_e32 0, v36
	s_xor_b32 s27, exec_lo, s27
; %bb.53:                               ;   in Loop: Header=BB31_7 Depth=1
	v_clz_i32_u32_e32 v24, v36
	v_and_or_b32 v33, v33, s7, 0x43000000
	s_delay_alu instid0(VALU_DEP_2) | instskip(SKIP_1) | instid1(VALU_DEP_2)
	v_xor_b32_e32 v35, 31, v24
	v_lshlrev_b32_e32 v24, 23, v24
	v_sub_nc_u32_e32 v35, 9, v35
	s_delay_alu instid0(VALU_DEP_2) | instskip(NEXT) | instid1(VALU_DEP_2)
	v_sub_nc_u32_e32 v24, v33, v24
                                        ; implicit-def: $vgpr33
	v_lshlrev_b32_e32 v34, v35, v34
	s_delay_alu instid0(VALU_DEP_1) | instskip(NEXT) | instid1(VALU_DEP_1)
	v_lshlrev_b32_e32 v34, 14, v34
	v_and_or_b32 v24, 0x7fc000, v34, v24
; %bb.54:                               ;   in Loop: Header=BB31_7 Depth=1
	s_and_not1_saveexec_b32 s27, s27
; %bb.55:                               ;   in Loop: Header=BB31_7 Depth=1
	v_and_b32_e32 v24, 0x80000000, v33
; %bb.56:                               ;   in Loop: Header=BB31_7 Depth=1
	s_or_b32 exec_lo, exec_lo, s27
.LBB31_57:                              ;   in Loop: Header=BB31_7 Depth=1
	s_delay_alu instid0(SALU_CYCLE_1)
	s_or_b32 exec_lo, exec_lo, s26
.LBB31_58:                              ;   in Loop: Header=BB31_7 Depth=1
	s_delay_alu instid0(SALU_CYCLE_1) | instskip(SKIP_4) | instid1(VALU_DEP_4)
	s_or_b32 exec_lo, exec_lo, s25
	v_dual_mov_b32 v34, v22 :: v_dual_add_nc_u32 v33, 1, v21
	v_dual_mov_b32 v36, v22 :: v_dual_add_nc_u32 v35, 2, v21
	v_add_nc_u32_e32 v21, 3, v21
	v_add_nc_u32_e32 v39, v27, v28
	v_lshlrev_b64 v[33:34], 2, v[33:34]
	s_delay_alu instid0(VALU_DEP_4) | instskip(NEXT) | instid1(VALU_DEP_4)
	v_lshlrev_b64 v[35:36], 2, v[35:36]
	v_lshlrev_b64 v[37:38], 2, v[21:22]
	s_delay_alu instid0(VALU_DEP_4) | instskip(NEXT) | instid1(VALU_DEP_4)
	v_add_nc_u32_e32 v21, 4, v39
	v_add_co_u32 v33, vcc_lo, s0, v33
	v_add_co_ci_u32_e32 v34, vcc_lo, s1, v34, vcc_lo
	v_add_co_u32 v35, vcc_lo, s0, v35
	v_add_co_ci_u32_e32 v36, vcc_lo, s1, v36, vcc_lo
	s_clause 0x1
	global_load_b32 v40, v[33:34], off
	global_load_b32 v35, v[35:36], off
	v_add_co_u32 v37, vcc_lo, s0, v37
	v_add_co_ci_u32_e32 v38, vcc_lo, s1, v38, vcc_lo
	v_lshlrev_b64 v[33:34], 2, v[21:22]
	global_load_b32 v36, v[37:38], off
	v_add_co_u32 v33, vcc_lo, s0, v33
	v_add_co_ci_u32_e32 v34, vcc_lo, s1, v34, vcc_lo
	global_load_b32 v37, v[33:34], off
	s_waitcnt vmcnt(3)
	v_lshrrev_b32_e32 v38, v26, v40
	s_delay_alu instid0(VALU_DEP_1) | instskip(SKIP_2) | instid1(VALU_DEP_2)
	v_lshrrev_b32_e32 v41, 2, v38
	s_waitcnt vmcnt(1)
	v_lshrrev_b32_e32 v36, v26, v36
	v_and_b32_e32 v41, 48, v41
	s_delay_alu instid0(VALU_DEP_2) | instskip(SKIP_2) | instid1(VALU_DEP_4)
	v_lshrrev_b32_e32 v42, 4, v36
	v_lshrrev_b32_e32 v44, 8, v36
	;; [unrolled: 1-line block ×3, first 2 shown]
	v_and_or_b32 v36, v36, 15, v41
	s_waitcnt vmcnt(0)
	v_bfe_u32 v51, v37, 12, 4
	v_bfe_u32 v47, v37, 8, 4
	;; [unrolled: 1-line block ×3, first 2 shown]
	v_cvt_f32_ubyte0_e32 v36, v36
	v_add_nc_u32_e32 v21, 20, v39
	v_bfe_u32 v39, v38, 8, 6
	v_bfe_u32 v49, v37, 24, 4
	;; [unrolled: 1-line block ×3, first 2 shown]
	v_mul_f32_e32 v36, v23, v36
	v_lshlrev_b64 v[33:34], 2, v[21:22]
	v_cvt_f32_ubyte0_e32 v39, v39
	v_and_b32_e32 v46, 15, v37
	v_bfe_u32 v52, v37, 20, 4
	v_lshrrev_b32_e32 v37, 28, v37
	v_cvt_f32_ubyte0_e32 v51, v51
	v_mul_f32_e32 v39, v23, v39
	v_add_co_u32 v33, vcc_lo, s0, v33
	v_add_co_ci_u32_e32 v34, vcc_lo, s1, v34, vcc_lo
	v_cvt_f32_ubyte0_e32 v50, v50
	v_cvt_f32_ubyte0_e32 v52, v52
	;; [unrolled: 1-line block ×3, first 2 shown]
	global_load_b32 v21, v[33:34], off
	v_bfe_u32 v34, v35, v26, 6
	v_lshrrev_b32_e32 v35, v26, v35
	v_bfe_u32 v33, v40, v26, 6
	v_lshrrev_b32_e32 v38, 10, v38
	v_cvt_f32_ubyte0_e32 v47, v47
	v_cvt_f32_ubyte0_e32 v34, v34
	v_bfe_u32 v40, v35, 8, 6
	v_lshrrev_b32_e32 v43, 2, v35
	v_cvt_f32_ubyte0_e32 v33, v33
	v_lshrrev_b32_e32 v35, 10, v35
	v_mul_f32_e32 v34, v24, v34
	v_cvt_f32_ubyte0_e32 v40, v40
	s_delay_alu instid0(VALU_DEP_4) | instskip(SKIP_2) | instid1(VALU_DEP_4)
	v_dual_mul_f32 v33, v23, v33 :: v_dual_and_b32 v38, 48, v38
	v_cvt_f32_ubyte0_e32 v46, v46
	v_cvt_f32_ubyte0_e32 v48, v48
	v_mul_f32_e32 v40, v24, v40
	s_delay_alu instid0(VALU_DEP_4) | instskip(SKIP_1) | instid1(VALU_DEP_4)
	v_and_or_b32 v38, v44, 15, v38
	v_cvt_f32_ubyte0_e32 v49, v49
	v_fma_f32 v44, v33, v48, -v34
	s_delay_alu instid0(VALU_DEP_4)
	v_fma_f32 v51, v39, v51, -v40
	v_fma_f32 v50, v39, v50, -v40
	;; [unrolled: 1-line block ×4, first 2 shown]
	v_cvt_f32_ubyte0_e32 v38, v38
	v_mul_f32_e32 v40, v14, v51
	v_and_b32_e32 v43, 48, v43
	s_delay_alu instid0(VALU_DEP_3) | instskip(NEXT) | instid1(VALU_DEP_3)
	v_mul_f32_e32 v23, v23, v38
	v_dual_fmac_f32 v40, v13, v50 :: v_dual_and_b32 v35, 48, v35
	s_delay_alu instid0(VALU_DEP_3) | instskip(SKIP_2) | instid1(VALU_DEP_4)
	v_and_or_b32 v41, v42, 15, v43
	v_fma_f32 v43, v33, v47, -v34
	v_fma_f32 v42, v33, v46, -v34
	v_fmac_f32_e32 v40, v15, v52
	v_and_or_b32 v35, v45, 15, v35
	v_cvt_f32_ubyte0_e32 v41, v41
	v_mul_f32_e32 v43, v18, v43
	v_fma_f32 v33, v33, v49, -v34
	v_fmac_f32_e32 v40, v16, v37
	v_cvt_f32_ubyte0_e32 v35, v35
	v_mul_f32_e32 v39, v24, v41
	s_delay_alu instid0(VALU_DEP_2) | instskip(NEXT) | instid1(VALU_DEP_1)
	v_dual_fmac_f32 v43, v17, v42 :: v_dual_mul_f32 v24, v24, v35
	v_fmac_f32_e32 v43, v19, v44
	s_delay_alu instid0(VALU_DEP_1)
	v_fmac_f32_e32 v43, v20, v33
	s_waitcnt vmcnt(0)
	v_bfe_u32 v54, v21, 8, 4
	v_and_b32_e32 v53, 15, v21
	v_bfe_u32 v55, v21, 16, 4
	v_bfe_u32 v56, v21, 24, 4
	;; [unrolled: 1-line block ×3, first 2 shown]
	v_cvt_f32_ubyte0_e32 v45, v54
	v_bfe_u32 v57, v21, 4, 4
	v_cvt_f32_ubyte0_e32 v34, v53
	v_cvt_f32_ubyte0_e32 v46, v55
	v_cvt_f32_ubyte0_e32 v47, v56
	v_cvt_f32_ubyte0_e32 v49, v58
	v_fma_f32 v35, v36, v45, -v39
	v_bfe_u32 v59, v21, 20, 4
	v_cvt_f32_ubyte0_e32 v48, v57
	v_fma_f32 v34, v36, v34, -v39
	v_fma_f32 v38, v36, v46, -v39
	;; [unrolled: 1-line block ×3, first 2 shown]
	v_mul_f32_e32 v35, v10, v35
	v_fma_f32 v39, v23, v49, -v24
	v_lshrrev_b32_e32 v21, 28, v21
	v_cvt_f32_ubyte0_e32 v53, v59
	v_fma_f32 v41, v23, v48, -v24
	v_fmac_f32_e32 v35, v9, v34
	v_mul_f32_e32 v33, v6, v39
	v_cvt_f32_ubyte0_e32 v21, v21
	v_fma_f32 v34, v23, v53, -v24
	v_add_f32_e32 v39, 0, v43
	v_fmac_f32_e32 v35, v11, v38
	v_fmac_f32_e32 v33, v5, v41
	v_fma_f32 v21, v23, v21, -v24
	s_delay_alu instid0(VALU_DEP_4) | instskip(NEXT) | instid1(VALU_DEP_4)
	v_add_f32_e32 v23, v40, v39
	v_fmac_f32_e32 v35, v12, v36
	s_delay_alu instid0(VALU_DEP_4) | instskip(NEXT) | instid1(VALU_DEP_2)
	v_fmac_f32_e32 v33, v7, v34
	v_add_f32_e32 v23, v35, v23
	s_delay_alu instid0(VALU_DEP_2) | instskip(NEXT) | instid1(VALU_DEP_1)
	v_fmac_f32_e32 v33, v8, v21
	v_add_f32_e32 v21, v33, v23
	s_delay_alu instid0(VALU_DEP_1)
	v_add_f32_e32 v2, v2, v21
	s_and_not1_b32 vcc_lo, exec_lo, s20
	s_cbranch_vccnz .LBB31_33
.LBB31_59:                              ;   in Loop: Header=BB31_7 Depth=1
	v_add_nc_u32_e32 v21, s24, v27
	s_mov_b32 s25, exec_lo
	s_delay_alu instid0(VALU_DEP_1) | instskip(NEXT) | instid1(VALU_DEP_1)
	v_lshlrev_b64 v[23:24], 2, v[21:22]
	v_add_co_u32 v23, vcc_lo, s0, v23
	s_delay_alu instid0(VALU_DEP_2) | instskip(SKIP_4) | instid1(VALU_DEP_2)
	v_add_co_ci_u32_e32 v24, vcc_lo, s1, v24, vcc_lo
	global_load_b32 v33, v[23:24], off
                                        ; implicit-def: $vgpr23
	s_waitcnt vmcnt(0)
	v_bfe_u32 v34, v33, 10, 5
	v_bfe_u32 v24, v33, 15, 1
	v_cmpx_lt_i32_e32 30, v34
	s_xor_b32 s25, exec_lo, s25
; %bb.60:                               ;   in Loop: Header=BB31_7 Depth=1
	v_and_b32_e32 v23, 0xffff, v33
	s_delay_alu instid0(VALU_DEP_3) | instskip(NEXT) | instid1(VALU_DEP_2)
	v_lshlrev_b32_e32 v24, 31, v24
                                        ; implicit-def: $vgpr34
	v_lshlrev_b32_e32 v23, 13, v23
	s_delay_alu instid0(VALU_DEP_1)
	v_or3_b32 v23, v24, v23, 0x7f800000
                                        ; implicit-def: $vgpr24
; %bb.61:                               ;   in Loop: Header=BB31_7 Depth=1
	s_and_not1_saveexec_b32 s25, s25
	s_cbranch_execz .LBB31_71
; %bb.62:                               ;   in Loop: Header=BB31_7 Depth=1
	v_and_b32_e32 v35, 0x3ff, v33
	s_mov_b32 s26, exec_lo
                                        ; implicit-def: $vgpr23
	v_cmpx_ne_u32_e32 0, v34
	s_xor_b32 s26, exec_lo, s26
; %bb.63:                               ;   in Loop: Header=BB31_7 Depth=1
	v_lshlrev_b32_e32 v23, 31, v24
	v_lshlrev_b32_e32 v24, 23, v34
	v_lshlrev_b32_e32 v34, 13, v35
                                        ; implicit-def: $vgpr35
	s_delay_alu instid0(VALU_DEP_1) | instskip(NEXT) | instid1(VALU_DEP_1)
	v_or3_b32 v23, v24, v23, v34
                                        ; implicit-def: $vgpr24
	v_add_nc_u32_e32 v23, 0x38000000, v23
; %bb.64:                               ;   in Loop: Header=BB31_7 Depth=1
	s_and_not1_saveexec_b32 s26, s26
	s_cbranch_execz .LBB31_70
; %bb.65:                               ;   in Loop: Header=BB31_7 Depth=1
	s_mov_b32 s27, exec_lo
                                        ; implicit-def: $vgpr23
	v_cmpx_ne_u32_e32 0, v35
	s_xor_b32 s27, exec_lo, s27
; %bb.66:                               ;   in Loop: Header=BB31_7 Depth=1
	v_clz_i32_u32_e32 v23, v35
	v_lshl_or_b32 v24, v24, 31, 0x43000000
	s_delay_alu instid0(VALU_DEP_2) | instskip(SKIP_1) | instid1(VALU_DEP_2)
	v_xor_b32_e32 v34, 31, v23
	v_lshlrev_b32_e32 v23, 23, v23
	v_sub_nc_u32_e32 v34, 9, v34
	s_delay_alu instid0(VALU_DEP_2) | instskip(NEXT) | instid1(VALU_DEP_2)
	v_sub_nc_u32_e32 v23, v24, v23
                                        ; implicit-def: $vgpr24
	v_lshlrev_b32_e32 v34, v34, v33
	s_delay_alu instid0(VALU_DEP_1) | instskip(NEXT) | instid1(VALU_DEP_1)
	v_lshlrev_b32_e32 v34, 14, v34
	v_and_or_b32 v23, 0x7fc000, v34, v23
; %bb.67:                               ;   in Loop: Header=BB31_7 Depth=1
	s_and_not1_saveexec_b32 s27, s27
; %bb.68:                               ;   in Loop: Header=BB31_7 Depth=1
	v_lshlrev_b32_e32 v23, 31, v24
; %bb.69:                               ;   in Loop: Header=BB31_7 Depth=1
	s_or_b32 exec_lo, exec_lo, s27
.LBB31_70:                              ;   in Loop: Header=BB31_7 Depth=1
	s_delay_alu instid0(SALU_CYCLE_1)
	s_or_b32 exec_lo, exec_lo, s26
.LBB31_71:                              ;   in Loop: Header=BB31_7 Depth=1
	s_delay_alu instid0(SALU_CYCLE_1) | instskip(SKIP_3) | instid1(VALU_DEP_2)
	s_or_b32 exec_lo, exec_lo, s25
	v_bfe_u32 v35, v33, 26, 5
	v_lshrrev_b32_e32 v34, 16, v33
	s_mov_b32 s25, exec_lo
                                        ; implicit-def: $vgpr24
	v_cmpx_lt_i32_e32 30, v35
	s_xor_b32 s25, exec_lo, s25
; %bb.72:                               ;   in Loop: Header=BB31_7 Depth=1
	v_and_b32_e32 v24, 0x80000000, v33
	v_lshlrev_b32_e32 v33, 13, v34
                                        ; implicit-def: $vgpr34
                                        ; implicit-def: $vgpr35
	s_delay_alu instid0(VALU_DEP_1)
	v_or3_b32 v24, v33, v24, 0x7f800000
                                        ; implicit-def: $vgpr33
; %bb.73:                               ;   in Loop: Header=BB31_7 Depth=1
	s_and_not1_saveexec_b32 s25, s25
	s_cbranch_execz .LBB31_83
; %bb.74:                               ;   in Loop: Header=BB31_7 Depth=1
	v_and_b32_e32 v36, 0x3ff, v34
	s_mov_b32 s26, exec_lo
                                        ; implicit-def: $vgpr24
	v_cmpx_ne_u32_e32 0, v35
	s_xor_b32 s26, exec_lo, s26
; %bb.75:                               ;   in Loop: Header=BB31_7 Depth=1
	v_and_b32_e32 v24, 0x80000000, v33
	v_lshlrev_b32_e32 v33, 23, v35
	v_lshlrev_b32_e32 v34, 13, v36
                                        ; implicit-def: $vgpr36
	s_delay_alu instid0(VALU_DEP_1) | instskip(NEXT) | instid1(VALU_DEP_1)
	v_or3_b32 v24, v33, v24, v34
                                        ; implicit-def: $vgpr33
                                        ; implicit-def: $vgpr34
	v_add_nc_u32_e32 v24, 0x38000000, v24
; %bb.76:                               ;   in Loop: Header=BB31_7 Depth=1
	s_and_not1_saveexec_b32 s26, s26
	s_cbranch_execz .LBB31_82
; %bb.77:                               ;   in Loop: Header=BB31_7 Depth=1
	s_mov_b32 s27, exec_lo
                                        ; implicit-def: $vgpr24
	v_cmpx_ne_u32_e32 0, v36
	s_xor_b32 s27, exec_lo, s27
; %bb.78:                               ;   in Loop: Header=BB31_7 Depth=1
	v_clz_i32_u32_e32 v24, v36
	v_and_or_b32 v33, v33, s7, 0x43000000
	s_delay_alu instid0(VALU_DEP_2) | instskip(SKIP_1) | instid1(VALU_DEP_2)
	v_xor_b32_e32 v35, 31, v24
	v_lshlrev_b32_e32 v24, 23, v24
	v_sub_nc_u32_e32 v35, 9, v35
	s_delay_alu instid0(VALU_DEP_2) | instskip(NEXT) | instid1(VALU_DEP_2)
	v_sub_nc_u32_e32 v24, v33, v24
                                        ; implicit-def: $vgpr33
	v_lshlrev_b32_e32 v34, v35, v34
	s_delay_alu instid0(VALU_DEP_1) | instskip(NEXT) | instid1(VALU_DEP_1)
	v_lshlrev_b32_e32 v34, 14, v34
	v_and_or_b32 v24, 0x7fc000, v34, v24
; %bb.79:                               ;   in Loop: Header=BB31_7 Depth=1
	s_and_not1_saveexec_b32 s27, s27
; %bb.80:                               ;   in Loop: Header=BB31_7 Depth=1
	v_and_b32_e32 v24, 0x80000000, v33
; %bb.81:                               ;   in Loop: Header=BB31_7 Depth=1
	s_or_b32 exec_lo, exec_lo, s27
.LBB31_82:                              ;   in Loop: Header=BB31_7 Depth=1
	s_delay_alu instid0(SALU_CYCLE_1)
	s_or_b32 exec_lo, exec_lo, s26
.LBB31_83:                              ;   in Loop: Header=BB31_7 Depth=1
	s_delay_alu instid0(SALU_CYCLE_1) | instskip(SKIP_4) | instid1(VALU_DEP_4)
	s_or_b32 exec_lo, exec_lo, s25
	v_dual_mov_b32 v34, v22 :: v_dual_add_nc_u32 v33, 1, v21
	v_dual_mov_b32 v36, v22 :: v_dual_add_nc_u32 v35, 2, v21
	v_add_nc_u32_e32 v21, 3, v21
	v_add_nc_u32_e32 v39, v27, v29
	v_lshlrev_b64 v[33:34], 2, v[33:34]
	s_delay_alu instid0(VALU_DEP_4) | instskip(NEXT) | instid1(VALU_DEP_4)
	v_lshlrev_b64 v[35:36], 2, v[35:36]
	v_lshlrev_b64 v[37:38], 2, v[21:22]
	s_delay_alu instid0(VALU_DEP_3) | instskip(NEXT) | instid1(VALU_DEP_4)
	v_add_co_u32 v33, vcc_lo, s0, v33
	v_add_co_ci_u32_e32 v34, vcc_lo, s1, v34, vcc_lo
	s_delay_alu instid0(VALU_DEP_4)
	v_add_co_u32 v35, vcc_lo, s0, v35
	v_add_co_ci_u32_e32 v36, vcc_lo, s1, v36, vcc_lo
	s_clause 0x1
	global_load_b32 v40, v[33:34], off
	global_load_b32 v35, v[35:36], off
	v_add_co_u32 v37, vcc_lo, s0, v37
	v_add_co_ci_u32_e32 v38, vcc_lo, s1, v38, vcc_lo
	global_load_b32 v36, v[37:38], off
	s_waitcnt vmcnt(2)
	v_lshrrev_b32_e32 v38, v26, v40
	s_delay_alu instid0(VALU_DEP_1) | instskip(SKIP_2) | instid1(VALU_DEP_2)
	v_lshrrev_b32_e32 v41, 2, v38
	s_waitcnt vmcnt(0)
	v_lshrrev_b32_e32 v36, v26, v36
	v_and_b32_e32 v41, 48, v41
	s_delay_alu instid0(VALU_DEP_2) | instskip(SKIP_2) | instid1(VALU_DEP_4)
	v_lshrrev_b32_e32 v42, 4, v36
	v_lshrrev_b32_e32 v44, 8, v36
	;; [unrolled: 1-line block ×3, first 2 shown]
	v_and_or_b32 v36, v36, 15, v41
	s_delay_alu instid0(VALU_DEP_1) | instskip(NEXT) | instid1(VALU_DEP_1)
	v_cvt_f32_ubyte0_e32 v36, v36
	v_dual_mul_f32 v36, v23, v36 :: v_dual_add_nc_u32 v21, 4, v39
	s_delay_alu instid0(VALU_DEP_1) | instskip(SKIP_3) | instid1(VALU_DEP_4)
	v_lshlrev_b64 v[33:34], 2, v[21:22]
	v_add_nc_u32_e32 v21, 20, v39
	v_bfe_u32 v39, v38, 8, 6
	v_lshrrev_b32_e32 v38, 10, v38
	v_add_co_u32 v33, vcc_lo, s0, v33
	v_add_co_ci_u32_e32 v34, vcc_lo, s1, v34, vcc_lo
	s_delay_alu instid0(VALU_DEP_4) | instskip(NEXT) | instid1(VALU_DEP_4)
	v_cvt_f32_ubyte0_e32 v39, v39
	v_and_b32_e32 v38, 48, v38
	global_load_b32 v37, v[33:34], off
	v_lshlrev_b64 v[33:34], 2, v[21:22]
	v_mul_f32_e32 v39, v23, v39
	v_and_or_b32 v38, v44, 15, v38
	s_delay_alu instid0(VALU_DEP_3) | instskip(NEXT) | instid1(VALU_DEP_4)
	v_add_co_u32 v33, vcc_lo, s0, v33
	v_add_co_ci_u32_e32 v34, vcc_lo, s1, v34, vcc_lo
	s_delay_alu instid0(VALU_DEP_3) | instskip(SKIP_4) | instid1(VALU_DEP_3)
	v_cvt_f32_ubyte0_e32 v38, v38
	global_load_b32 v21, v[33:34], off
	v_bfe_u32 v34, v35, v26, 6
	v_lshrrev_b32_e32 v35, v26, v35
	v_bfe_u32 v33, v40, v26, 6
	v_cvt_f32_ubyte0_e32 v34, v34
	s_delay_alu instid0(VALU_DEP_3) | instskip(SKIP_1) | instid1(VALU_DEP_4)
	v_bfe_u32 v40, v35, 8, 6
	v_lshrrev_b32_e32 v43, 2, v35
	v_cvt_f32_ubyte0_e32 v33, v33
	v_lshrrev_b32_e32 v35, 10, v35
	v_mul_f32_e32 v34, v24, v34
	v_cvt_f32_ubyte0_e32 v40, v40
	s_delay_alu instid0(VALU_DEP_4) | instskip(NEXT) | instid1(VALU_DEP_2)
	v_mul_f32_e32 v33, v23, v33
	v_dual_mul_f32 v23, v23, v38 :: v_dual_mul_f32 v40, v24, v40
	s_waitcnt vmcnt(1)
	v_bfe_u32 v51, v37, 12, 4
	v_and_b32_e32 v46, 15, v37
	v_bfe_u32 v47, v37, 8, 4
	v_bfe_u32 v48, v37, 16, 4
	v_bfe_u32 v49, v37, 24, 4
	v_bfe_u32 v50, v37, 4, 4
	v_bfe_u32 v52, v37, 20, 4
	v_lshrrev_b32_e32 v37, 28, v37
	v_cvt_f32_ubyte0_e32 v51, v51
	v_cvt_f32_ubyte0_e32 v47, v47
	;; [unrolled: 1-line block ×5, first 2 shown]
	v_fma_f32 v51, v39, v51, -v40
	v_cvt_f32_ubyte0_e32 v46, v46
	v_fma_f32 v50, v39, v50, -v40
	v_fma_f32 v52, v39, v52, -v40
	;; [unrolled: 1-line block ×3, first 2 shown]
	v_mul_f32_e32 v40, v14, v51
	s_waitcnt vmcnt(0)
	v_bfe_u32 v54, v21, 8, 4
	v_cvt_f32_ubyte0_e32 v48, v48
	v_cvt_f32_ubyte0_e32 v49, v49
	v_bfe_u32 v55, v21, 16, 4
	v_dual_fmac_f32 v40, v13, v50 :: v_dual_and_b32 v43, 48, v43
	v_bfe_u32 v56, v21, 24, 4
	v_bfe_u32 v58, v21, 12, 4
	;; [unrolled: 1-line block ×3, first 2 shown]
	s_delay_alu instid0(VALU_DEP_4) | instskip(SKIP_3) | instid1(VALU_DEP_4)
	v_dual_fmac_f32 v40, v15, v52 :: v_dual_and_b32 v35, 48, v35
	v_and_or_b32 v41, v42, 15, v43
	v_fma_f32 v43, v33, v47, -v34
	v_fma_f32 v42, v33, v46, -v34
	v_fmac_f32_e32 v40, v16, v37
	v_and_or_b32 v35, v45, 15, v35
	v_cvt_f32_ubyte0_e32 v41, v41
	v_cvt_f32_ubyte0_e32 v45, v54
	v_mul_f32_e32 v43, v18, v43
	v_fma_f32 v44, v33, v48, -v34
	v_cvt_f32_ubyte0_e32 v35, v35
	v_and_b32_e32 v53, 15, v21
	v_mul_f32_e32 v39, v24, v41
	v_fma_f32 v33, v33, v49, -v34
	v_cvt_f32_ubyte0_e32 v46, v55
	v_mul_f32_e32 v24, v24, v35
	v_cvt_f32_ubyte0_e32 v34, v53
	v_cvt_f32_ubyte0_e32 v47, v56
	;; [unrolled: 1-line block ×3, first 2 shown]
	v_fmac_f32_e32 v43, v17, v42
	v_fma_f32 v35, v36, v45, -v39
	v_bfe_u32 v59, v21, 20, 4
	v_cvt_f32_ubyte0_e32 v48, v57
	v_fma_f32 v34, v36, v34, -v39
	v_fmac_f32_e32 v43, v19, v44
	v_fma_f32 v38, v36, v46, -v39
	v_fma_f32 v36, v36, v47, -v39
	v_mul_f32_e32 v35, v10, v35
	v_fma_f32 v39, v23, v49, -v24
	v_lshrrev_b32_e32 v21, 28, v21
	v_cvt_f32_ubyte0_e32 v53, v59
	v_fma_f32 v41, v23, v48, -v24
	v_fmac_f32_e32 v43, v20, v33
	v_fmac_f32_e32 v35, v9, v34
	v_mul_f32_e32 v33, v6, v39
	v_cvt_f32_ubyte0_e32 v21, v21
	v_fma_f32 v34, v23, v53, -v24
	v_add_f32_e32 v39, 0, v43
	v_fmac_f32_e32 v35, v11, v38
	v_fmac_f32_e32 v33, v5, v41
	v_fma_f32 v21, v23, v21, -v24
	s_delay_alu instid0(VALU_DEP_4) | instskip(NEXT) | instid1(VALU_DEP_4)
	v_add_f32_e32 v23, v40, v39
	v_fmac_f32_e32 v35, v12, v36
	s_delay_alu instid0(VALU_DEP_4) | instskip(NEXT) | instid1(VALU_DEP_2)
	v_fmac_f32_e32 v33, v7, v34
	v_add_f32_e32 v23, v35, v23
	s_delay_alu instid0(VALU_DEP_2) | instskip(NEXT) | instid1(VALU_DEP_1)
	v_fmac_f32_e32 v33, v8, v21
	v_add_f32_e32 v21, v33, v23
	s_delay_alu instid0(VALU_DEP_1)
	v_add_f32_e32 v3, v3, v21
	s_and_not1_b32 vcc_lo, exec_lo, s21
	s_cbranch_vccnz .LBB31_6
.LBB31_84:                              ;   in Loop: Header=BB31_7 Depth=1
	v_add_nc_u32_e32 v21, s15, v27
	s_mov_b32 s25, exec_lo
	s_delay_alu instid0(VALU_DEP_1) | instskip(NEXT) | instid1(VALU_DEP_1)
	v_lshlrev_b64 v[23:24], 2, v[21:22]
	v_add_co_u32 v23, vcc_lo, s0, v23
	s_delay_alu instid0(VALU_DEP_2) | instskip(SKIP_4) | instid1(VALU_DEP_2)
	v_add_co_ci_u32_e32 v24, vcc_lo, s1, v24, vcc_lo
	global_load_b32 v33, v[23:24], off
                                        ; implicit-def: $vgpr23
	s_waitcnt vmcnt(0)
	v_bfe_u32 v34, v33, 10, 5
	v_bfe_u32 v24, v33, 15, 1
	v_cmpx_lt_i32_e32 30, v34
	s_xor_b32 s25, exec_lo, s25
; %bb.85:                               ;   in Loop: Header=BB31_7 Depth=1
	v_and_b32_e32 v23, 0xffff, v33
	s_delay_alu instid0(VALU_DEP_3) | instskip(NEXT) | instid1(VALU_DEP_2)
	v_lshlrev_b32_e32 v24, 31, v24
                                        ; implicit-def: $vgpr34
	v_lshlrev_b32_e32 v23, 13, v23
	s_delay_alu instid0(VALU_DEP_1)
	v_or3_b32 v23, v24, v23, 0x7f800000
                                        ; implicit-def: $vgpr24
; %bb.86:                               ;   in Loop: Header=BB31_7 Depth=1
	s_and_not1_saveexec_b32 s25, s25
	s_cbranch_execz .LBB31_96
; %bb.87:                               ;   in Loop: Header=BB31_7 Depth=1
	v_and_b32_e32 v35, 0x3ff, v33
	s_mov_b32 s26, exec_lo
                                        ; implicit-def: $vgpr23
	v_cmpx_ne_u32_e32 0, v34
	s_xor_b32 s26, exec_lo, s26
; %bb.88:                               ;   in Loop: Header=BB31_7 Depth=1
	v_lshlrev_b32_e32 v23, 31, v24
	v_lshlrev_b32_e32 v24, 23, v34
	;; [unrolled: 1-line block ×3, first 2 shown]
                                        ; implicit-def: $vgpr35
	s_delay_alu instid0(VALU_DEP_1) | instskip(NEXT) | instid1(VALU_DEP_1)
	v_or3_b32 v23, v24, v23, v34
                                        ; implicit-def: $vgpr24
	v_add_nc_u32_e32 v23, 0x38000000, v23
; %bb.89:                               ;   in Loop: Header=BB31_7 Depth=1
	s_and_not1_saveexec_b32 s26, s26
	s_cbranch_execz .LBB31_95
; %bb.90:                               ;   in Loop: Header=BB31_7 Depth=1
	s_mov_b32 s27, exec_lo
                                        ; implicit-def: $vgpr23
	v_cmpx_ne_u32_e32 0, v35
	s_xor_b32 s27, exec_lo, s27
; %bb.91:                               ;   in Loop: Header=BB31_7 Depth=1
	v_clz_i32_u32_e32 v23, v35
	v_lshl_or_b32 v24, v24, 31, 0x43000000
	s_delay_alu instid0(VALU_DEP_2) | instskip(SKIP_1) | instid1(VALU_DEP_2)
	v_xor_b32_e32 v34, 31, v23
	v_lshlrev_b32_e32 v23, 23, v23
	v_sub_nc_u32_e32 v34, 9, v34
	s_delay_alu instid0(VALU_DEP_2) | instskip(NEXT) | instid1(VALU_DEP_2)
	v_sub_nc_u32_e32 v23, v24, v23
                                        ; implicit-def: $vgpr24
	v_lshlrev_b32_e32 v34, v34, v33
	s_delay_alu instid0(VALU_DEP_1) | instskip(NEXT) | instid1(VALU_DEP_1)
	v_lshlrev_b32_e32 v34, 14, v34
	v_and_or_b32 v23, 0x7fc000, v34, v23
; %bb.92:                               ;   in Loop: Header=BB31_7 Depth=1
	s_and_not1_saveexec_b32 s27, s27
; %bb.93:                               ;   in Loop: Header=BB31_7 Depth=1
	v_lshlrev_b32_e32 v23, 31, v24
; %bb.94:                               ;   in Loop: Header=BB31_7 Depth=1
	s_or_b32 exec_lo, exec_lo, s27
.LBB31_95:                              ;   in Loop: Header=BB31_7 Depth=1
	s_delay_alu instid0(SALU_CYCLE_1)
	s_or_b32 exec_lo, exec_lo, s26
.LBB31_96:                              ;   in Loop: Header=BB31_7 Depth=1
	s_delay_alu instid0(SALU_CYCLE_1) | instskip(SKIP_3) | instid1(VALU_DEP_2)
	s_or_b32 exec_lo, exec_lo, s25
	v_bfe_u32 v35, v33, 26, 5
	v_lshrrev_b32_e32 v34, 16, v33
	s_mov_b32 s25, exec_lo
                                        ; implicit-def: $vgpr24
	v_cmpx_lt_i32_e32 30, v35
	s_xor_b32 s25, exec_lo, s25
; %bb.97:                               ;   in Loop: Header=BB31_7 Depth=1
	v_and_b32_e32 v24, 0x80000000, v33
	v_lshlrev_b32_e32 v33, 13, v34
                                        ; implicit-def: $vgpr34
                                        ; implicit-def: $vgpr35
	s_delay_alu instid0(VALU_DEP_1)
	v_or3_b32 v24, v33, v24, 0x7f800000
                                        ; implicit-def: $vgpr33
; %bb.98:                               ;   in Loop: Header=BB31_7 Depth=1
	s_and_not1_saveexec_b32 s25, s25
	s_cbranch_execz .LBB31_5
; %bb.99:                               ;   in Loop: Header=BB31_7 Depth=1
	v_and_b32_e32 v36, 0x3ff, v34
	s_mov_b32 s26, exec_lo
                                        ; implicit-def: $vgpr24
	v_cmpx_ne_u32_e32 0, v35
	s_xor_b32 s26, exec_lo, s26
; %bb.100:                              ;   in Loop: Header=BB31_7 Depth=1
	v_and_b32_e32 v24, 0x80000000, v33
	v_lshlrev_b32_e32 v33, 23, v35
	v_lshlrev_b32_e32 v34, 13, v36
                                        ; implicit-def: $vgpr36
	s_delay_alu instid0(VALU_DEP_1) | instskip(NEXT) | instid1(VALU_DEP_1)
	v_or3_b32 v24, v33, v24, v34
                                        ; implicit-def: $vgpr33
                                        ; implicit-def: $vgpr34
	v_add_nc_u32_e32 v24, 0x38000000, v24
; %bb.101:                              ;   in Loop: Header=BB31_7 Depth=1
	s_and_not1_saveexec_b32 s26, s26
	s_cbranch_execz .LBB31_4
; %bb.102:                              ;   in Loop: Header=BB31_7 Depth=1
	s_mov_b32 s27, exec_lo
                                        ; implicit-def: $vgpr24
	v_cmpx_ne_u32_e32 0, v36
	s_xor_b32 s27, exec_lo, s27
; %bb.103:                              ;   in Loop: Header=BB31_7 Depth=1
	v_clz_i32_u32_e32 v24, v36
	v_and_or_b32 v33, v33, s7, 0x43000000
	s_delay_alu instid0(VALU_DEP_2) | instskip(SKIP_1) | instid1(VALU_DEP_2)
	v_xor_b32_e32 v35, 31, v24
	v_lshlrev_b32_e32 v24, 23, v24
	v_sub_nc_u32_e32 v35, 9, v35
	s_delay_alu instid0(VALU_DEP_2) | instskip(NEXT) | instid1(VALU_DEP_2)
	v_sub_nc_u32_e32 v24, v33, v24
                                        ; implicit-def: $vgpr33
	v_lshlrev_b32_e32 v34, v35, v34
	s_delay_alu instid0(VALU_DEP_1) | instskip(NEXT) | instid1(VALU_DEP_1)
	v_lshlrev_b32_e32 v34, 14, v34
	v_and_or_b32 v24, 0x7fc000, v34, v24
; %bb.104:                              ;   in Loop: Header=BB31_7 Depth=1
	s_and_not1_saveexec_b32 s27, s27
	s_cbranch_execz .LBB31_3
; %bb.105:                              ;   in Loop: Header=BB31_7 Depth=1
	v_and_b32_e32 v24, 0x80000000, v33
	s_branch .LBB31_3
.LBB31_106:
	s_or_b32 exec_lo, exec_lo, s4
.LBB31_107:
	s_delay_alu instid0(SALU_CYCLE_1) | instskip(SKIP_1) | instid1(VALU_DEP_1)
	s_or_b32 exec_lo, exec_lo, s19
	v_mbcnt_lo_u32_b32 v8, -1, 0
	v_cmp_gt_u32_e32 vcc_lo, 16, v8
	v_cndmask_b32_e64 v5, 0, 1, vcc_lo
	v_cmp_gt_u32_e32 vcc_lo, 24, v8
	s_delay_alu instid0(VALU_DEP_2) | instskip(SKIP_2) | instid1(VALU_DEP_3)
	v_lshlrev_b32_e32 v5, 4, v5
	v_cndmask_b32_e64 v6, 0, 1, vcc_lo
	v_cmp_gt_u32_e32 vcc_lo, 28, v8
	v_add_lshl_u32 v5, v5, v8, 2
	ds_bpermute_b32 v7, v5, v1
	s_waitcnt lgkmcnt(0)
	v_dual_add_f32 v7, v1, v7 :: v_dual_lshlrev_b32 v6, 3, v6
	s_delay_alu instid0(VALU_DEP_1) | instskip(SKIP_4) | instid1(VALU_DEP_1)
	v_add_lshl_u32 v6, v6, v8, 2
	v_cndmask_b32_e64 v1, 0, 1, vcc_lo
	v_cmp_gt_u32_e32 vcc_lo, 30, v8
	ds_bpermute_b32 v9, v6, v7
	v_lshlrev_b32_e32 v1, 2, v1
	v_add_lshl_u32 v1, v1, v8, 2
	s_waitcnt lgkmcnt(0)
	v_add_f32_e32 v9, v7, v9
	v_cndmask_b32_e64 v7, 0, 1, vcc_lo
	v_cmp_ne_u32_e32 vcc_lo, 31, v8
	s_delay_alu instid0(VALU_DEP_2) | instskip(NEXT) | instid1(VALU_DEP_1)
	v_lshlrev_b32_e32 v7, 1, v7
	v_add_lshl_u32 v7, v7, v8, 2
	v_add_co_ci_u32_e32 v8, vcc_lo, 0, v8, vcc_lo
	s_delay_alu instid0(VALU_DEP_1)
	v_lshlrev_b32_e32 v8, 2, v8
	ds_bpermute_b32 v10, v1, v9
	s_waitcnt lgkmcnt(0)
	v_add_f32_e32 v9, v9, v10
	ds_bpermute_b32 v10, v7, v9
	s_waitcnt lgkmcnt(0)
	v_add_f32_e32 v11, v9, v10
	v_and_b32_e32 v9, 31, v0
	v_lshrrev_b32_e32 v10, 3, v0
	ds_bpermute_b32 v12, v8, v11
	v_cmp_eq_u32_e64 s1, 0, v9
	s_delay_alu instid0(VALU_DEP_1)
	s_and_saveexec_b32 s0, s1
	s_cbranch_execz .LBB31_109
; %bb.108:
	s_waitcnt lgkmcnt(0)
	v_add_f32_e32 v11, v11, v12
	ds_store_b32 v10, v11
.LBB31_109:
	s_or_b32 exec_lo, exec_lo, s0
	s_add_i32 s8, s8, 31
	v_lshlrev_b32_e32 v9, 2, v9
	s_lshr_b32 s0, s8, 5
	v_mov_b32_e32 v11, 0
	v_cmp_gt_u32_e64 s0, s0, v0
	s_waitcnt lgkmcnt(0)
	s_barrier
	buffer_gl0_inv
	s_and_saveexec_b32 s2, s0
	s_cbranch_execz .LBB31_111
; %bb.110:
	ds_load_b32 v11, v9
.LBB31_111:
	s_or_b32 exec_lo, exec_lo, s2
	v_cmp_gt_u32_e64 s2, 32, v0
	s_delay_alu instid0(VALU_DEP_1)
	s_and_saveexec_b32 s3, s2
	s_cbranch_execz .LBB31_113
; %bb.112:
	s_waitcnt lgkmcnt(0)
	ds_bpermute_b32 v12, v5, v11
	s_waitcnt lgkmcnt(0)
	v_add_f32_e32 v11, v11, v12
	ds_bpermute_b32 v12, v6, v11
	s_waitcnt lgkmcnt(0)
	v_add_f32_e32 v11, v11, v12
	;; [unrolled: 3-line block ×5, first 2 shown]
.LBB31_113:
	s_or_b32 exec_lo, exec_lo, s3
	v_cmp_eq_u32_e64 s3, 0, v0
	s_lshr_b32 s7, s16, 2
	s_cmp_lg_u32 s17, 0
	s_mov_b32 s5, 0
	s_cselect_b32 s6, -1, 0
	s_and_saveexec_b32 s8, s3
	s_cbranch_execz .LBB31_117
; %bb.114:
	s_add_i32 s4, s7, s18
	s_delay_alu instid0(SALU_CYCLE_1) | instskip(NEXT) | instid1(SALU_CYCLE_1)
	s_lshl_b64 s[4:5], s[4:5], 2
	s_add_u32 s4, s12, s4
	s_addc_u32 s5, s13, s5
	s_and_not1_b32 vcc_lo, exec_lo, s6
	s_cbranch_vccnz .LBB31_116
; %bb.115:
	s_load_b32 s9, s[4:5], 0x0
	s_waitcnt lgkmcnt(0)
	v_add_f32_e32 v11, s9, v11
.LBB31_116:
	v_mov_b32_e32 v0, 0
	s_waitcnt lgkmcnt(0)
	global_store_b32 v0, v11, s[4:5]
.LBB31_117:
	s_or_b32 exec_lo, exec_lo, s8
	ds_bpermute_b32 v0, v5, v2
	s_waitcnt lgkmcnt(0)
	s_waitcnt_vscnt null, 0x0
	s_barrier
	buffer_gl0_inv
	v_add_f32_e32 v0, v2, v0
	ds_bpermute_b32 v2, v6, v0
	s_waitcnt lgkmcnt(0)
	v_add_f32_e32 v0, v0, v2
	ds_bpermute_b32 v2, v1, v0
	s_waitcnt lgkmcnt(0)
	;; [unrolled: 3-line block ×3, first 2 shown]
	v_add_f32_e32 v0, v0, v2
	ds_bpermute_b32 v2, v8, v0
	s_and_saveexec_b32 s4, s1
	s_cbranch_execz .LBB31_119
; %bb.118:
	s_waitcnt lgkmcnt(0)
	v_add_f32_e32 v0, v0, v2
	ds_store_b32 v10, v0
.LBB31_119:
	s_or_b32 exec_lo, exec_lo, s4
	v_mov_b32_e32 v0, 0
	s_waitcnt lgkmcnt(0)
	s_barrier
	buffer_gl0_inv
	s_and_saveexec_b32 s4, s0
	s_cbranch_execnz .LBB31_122
; %bb.120:
	s_or_b32 exec_lo, exec_lo, s4
	s_and_saveexec_b32 s4, s2
	s_cbranch_execnz .LBB31_123
.LBB31_121:
	s_or_b32 exec_lo, exec_lo, s4
	s_and_saveexec_b32 s8, s3
	s_cbranch_execnz .LBB31_124
	s_branch .LBB31_128
.LBB31_122:
	ds_load_b32 v0, v9
	s_or_b32 exec_lo, exec_lo, s4
	s_and_saveexec_b32 s4, s2
	s_cbranch_execz .LBB31_121
.LBB31_123:
	s_waitcnt lgkmcnt(0)
	ds_bpermute_b32 v2, v5, v0
	s_waitcnt lgkmcnt(0)
	v_add_f32_e32 v0, v0, v2
	ds_bpermute_b32 v2, v6, v0
	s_waitcnt lgkmcnt(0)
	v_add_f32_e32 v0, v0, v2
	;; [unrolled: 3-line block ×5, first 2 shown]
	s_or_b32 exec_lo, exec_lo, s4
	s_and_saveexec_b32 s8, s3
	s_cbranch_execz .LBB31_128
.LBB31_124:
	s_or_b32 s4, s18, 1
	s_delay_alu instid0(SALU_CYCLE_1)
	s_cmp_ge_u32 s4, s14
	s_cbranch_scc1 .LBB31_128
; %bb.125:
	s_add_i32 s4, s7, s4
	s_mov_b32 s5, 0
	s_delay_alu instid0(SALU_CYCLE_1) | instskip(NEXT) | instid1(SALU_CYCLE_1)
	s_lshl_b64 s[4:5], s[4:5], 2
	s_add_u32 s4, s12, s4
	s_addc_u32 s5, s13, s5
	s_and_not1_b32 vcc_lo, exec_lo, s6
	s_cbranch_vccnz .LBB31_127
; %bb.126:
	v_mov_b32_e32 v2, 0
	global_load_b32 v2, v2, s[4:5]
	s_waitcnt vmcnt(0) lgkmcnt(0)
	v_add_f32_e32 v0, v0, v2
.LBB31_127:
	v_mov_b32_e32 v2, 0
	s_waitcnt lgkmcnt(0)
	global_store_b32 v2, v0, s[4:5]
.LBB31_128:
	s_or_b32 exec_lo, exec_lo, s8
	s_waitcnt lgkmcnt(0)
	ds_bpermute_b32 v0, v5, v3
	s_waitcnt lgkmcnt(0)
	s_waitcnt_vscnt null, 0x0
	s_barrier
	buffer_gl0_inv
	v_add_f32_e32 v0, v3, v0
	ds_bpermute_b32 v2, v6, v0
	s_waitcnt lgkmcnt(0)
	v_add_f32_e32 v0, v0, v2
	ds_bpermute_b32 v2, v1, v0
	s_waitcnt lgkmcnt(0)
	;; [unrolled: 3-line block ×3, first 2 shown]
	v_add_f32_e32 v0, v0, v2
	ds_bpermute_b32 v2, v8, v0
	s_and_saveexec_b32 s4, s1
	s_cbranch_execz .LBB31_130
; %bb.129:
	s_waitcnt lgkmcnt(0)
	v_add_f32_e32 v0, v0, v2
	ds_store_b32 v10, v0
.LBB31_130:
	s_or_b32 exec_lo, exec_lo, s4
	v_mov_b32_e32 v0, 0
	s_waitcnt lgkmcnt(0)
	s_barrier
	buffer_gl0_inv
	s_and_saveexec_b32 s4, s0
	s_cbranch_execnz .LBB31_133
; %bb.131:
	s_or_b32 exec_lo, exec_lo, s4
	s_and_saveexec_b32 s4, s2
	s_cbranch_execnz .LBB31_134
.LBB31_132:
	s_or_b32 exec_lo, exec_lo, s4
	s_and_saveexec_b32 s8, s3
	s_cbranch_execnz .LBB31_135
	s_branch .LBB31_139
.LBB31_133:
	ds_load_b32 v0, v9
	s_or_b32 exec_lo, exec_lo, s4
	s_and_saveexec_b32 s4, s2
	s_cbranch_execz .LBB31_132
.LBB31_134:
	s_waitcnt lgkmcnt(0)
	ds_bpermute_b32 v2, v5, v0
	s_waitcnt lgkmcnt(0)
	v_add_f32_e32 v0, v0, v2
	ds_bpermute_b32 v2, v6, v0
	s_waitcnt lgkmcnt(0)
	v_add_f32_e32 v0, v0, v2
	;; [unrolled: 3-line block ×5, first 2 shown]
	s_or_b32 exec_lo, exec_lo, s4
	s_and_saveexec_b32 s8, s3
	s_cbranch_execz .LBB31_139
.LBB31_135:
	s_or_b32 s4, s18, 2
	s_delay_alu instid0(SALU_CYCLE_1)
	s_cmp_ge_u32 s4, s14
	s_cbranch_scc1 .LBB31_139
; %bb.136:
	s_add_i32 s4, s7, s4
	s_mov_b32 s5, 0
	s_delay_alu instid0(SALU_CYCLE_1) | instskip(NEXT) | instid1(SALU_CYCLE_1)
	s_lshl_b64 s[4:5], s[4:5], 2
	s_add_u32 s4, s12, s4
	s_addc_u32 s5, s13, s5
	s_and_not1_b32 vcc_lo, exec_lo, s6
	s_cbranch_vccnz .LBB31_138
; %bb.137:
	v_mov_b32_e32 v2, 0
	global_load_b32 v2, v2, s[4:5]
	s_waitcnt vmcnt(0) lgkmcnt(0)
	v_add_f32_e32 v0, v0, v2
.LBB31_138:
	v_mov_b32_e32 v2, 0
	s_waitcnt lgkmcnt(0)
	global_store_b32 v2, v0, s[4:5]
.LBB31_139:
	s_or_b32 exec_lo, exec_lo, s8
	s_waitcnt lgkmcnt(0)
	ds_bpermute_b32 v0, v5, v4
	s_waitcnt lgkmcnt(0)
	s_waitcnt_vscnt null, 0x0
	s_barrier
	buffer_gl0_inv
	v_add_f32_e32 v0, v4, v0
	ds_bpermute_b32 v2, v6, v0
	s_waitcnt lgkmcnt(0)
	v_add_f32_e32 v0, v0, v2
	ds_bpermute_b32 v2, v1, v0
	s_waitcnt lgkmcnt(0)
	;; [unrolled: 3-line block ×3, first 2 shown]
	v_add_f32_e32 v0, v0, v2
	ds_bpermute_b32 v2, v8, v0
	s_and_saveexec_b32 s4, s1
	s_cbranch_execz .LBB31_141
; %bb.140:
	s_waitcnt lgkmcnt(0)
	v_add_f32_e32 v0, v0, v2
	ds_store_b32 v10, v0
.LBB31_141:
	s_or_b32 exec_lo, exec_lo, s4
	v_mov_b32_e32 v0, 0
	s_waitcnt lgkmcnt(0)
	s_barrier
	buffer_gl0_inv
	s_and_saveexec_b32 s1, s0
	s_cbranch_execnz .LBB31_144
; %bb.142:
	s_or_b32 exec_lo, exec_lo, s1
	s_and_saveexec_b32 s0, s2
	s_cbranch_execnz .LBB31_145
.LBB31_143:
	s_or_b32 exec_lo, exec_lo, s0
	s_and_saveexec_b32 s2, s3
	s_cbranch_execnz .LBB31_146
	s_branch .LBB31_150
.LBB31_144:
	ds_load_b32 v0, v9
	s_or_b32 exec_lo, exec_lo, s1
	s_and_saveexec_b32 s0, s2
	s_cbranch_execz .LBB31_143
.LBB31_145:
	s_waitcnt lgkmcnt(0)
	ds_bpermute_b32 v2, v5, v0
	s_waitcnt lgkmcnt(0)
	v_add_f32_e32 v0, v0, v2
	ds_bpermute_b32 v2, v6, v0
	s_waitcnt lgkmcnt(0)
	v_add_f32_e32 v0, v0, v2
	;; [unrolled: 3-line block ×5, first 2 shown]
	s_or_b32 exec_lo, exec_lo, s0
	s_and_saveexec_b32 s2, s3
	s_cbranch_execz .LBB31_150
.LBB31_146:
	s_or_b32 s0, s18, 3
	s_delay_alu instid0(SALU_CYCLE_1)
	s_cmp_ge_u32 s0, s14
	s_cbranch_scc1 .LBB31_150
; %bb.147:
	s_add_i32 s0, s7, s0
	s_mov_b32 s1, 0
	s_delay_alu instid0(SALU_CYCLE_1) | instskip(NEXT) | instid1(SALU_CYCLE_1)
	s_lshl_b64 s[0:1], s[0:1], 2
	s_add_u32 s0, s12, s0
	s_addc_u32 s1, s13, s1
	s_and_not1_b32 vcc_lo, exec_lo, s6
	s_cbranch_vccnz .LBB31_149
; %bb.148:
	v_mov_b32_e32 v1, 0
	global_load_b32 v1, v1, s[0:1]
	s_waitcnt vmcnt(0) lgkmcnt(0)
	v_add_f32_e32 v0, v0, v1
.LBB31_149:
	v_mov_b32_e32 v1, 0
	s_waitcnt lgkmcnt(0)
	global_store_b32 v1, v0, s[0:1]
.LBB31_150:
	s_or_b32 exec_lo, exec_lo, s2
	s_waitcnt lgkmcnt(0)
	s_waitcnt_vscnt null, 0x0
	s_barrier
	buffer_gl0_inv
.LBB31_151:
	s_endpgm
	.section	.rodata,"a",@progbits
	.p2align	6, 0x0
	.amdhsa_kernel dmmv_q4k_mr4
		.amdhsa_group_segment_fixed_size 128
		.amdhsa_private_segment_fixed_size 0
		.amdhsa_kernarg_size 304
		.amdhsa_user_sgpr_count 15
		.amdhsa_user_sgpr_dispatch_ptr 0
		.amdhsa_user_sgpr_queue_ptr 0
		.amdhsa_user_sgpr_kernarg_segment_ptr 1
		.amdhsa_user_sgpr_dispatch_id 0
		.amdhsa_user_sgpr_private_segment_size 0
		.amdhsa_wavefront_size32 1
		.amdhsa_uses_dynamic_stack 0
		.amdhsa_enable_private_segment 0
		.amdhsa_system_sgpr_workgroup_id_x 1
		.amdhsa_system_sgpr_workgroup_id_y 0
		.amdhsa_system_sgpr_workgroup_id_z 0
		.amdhsa_system_sgpr_workgroup_info 0
		.amdhsa_system_vgpr_workitem_id 0
		.amdhsa_next_free_vgpr 60
		.amdhsa_next_free_sgpr 28
		.amdhsa_reserve_vcc 1
		.amdhsa_float_round_mode_32 0
		.amdhsa_float_round_mode_16_64 0
		.amdhsa_float_denorm_mode_32 3
		.amdhsa_float_denorm_mode_16_64 3
		.amdhsa_dx10_clamp 1
		.amdhsa_ieee_mode 1
		.amdhsa_fp16_overflow 0
		.amdhsa_workgroup_processor_mode 1
		.amdhsa_memory_ordered 1
		.amdhsa_forward_progress 0
		.amdhsa_shared_vgpr_count 0
		.amdhsa_exception_fp_ieee_invalid_op 0
		.amdhsa_exception_fp_denorm_src 0
		.amdhsa_exception_fp_ieee_div_zero 0
		.amdhsa_exception_fp_ieee_overflow 0
		.amdhsa_exception_fp_ieee_underflow 0
		.amdhsa_exception_fp_ieee_inexact 0
		.amdhsa_exception_int_div_zero 0
	.end_amdhsa_kernel
	.text
.Lfunc_end31:
	.size	dmmv_q4k_mr4, .Lfunc_end31-dmmv_q4k_mr4
                                        ; -- End function
	.section	.AMDGPU.csdata,"",@progbits
; Kernel info:
; codeLenInByte = 7604
; NumSgprs: 30
; NumVgprs: 60
; ScratchSize: 0
; MemoryBound: 0
; FloatMode: 240
; IeeeMode: 1
; LDSByteSize: 128 bytes/workgroup (compile time only)
; SGPRBlocks: 3
; VGPRBlocks: 7
; NumSGPRsForWavesPerEU: 30
; NumVGPRsForWavesPerEU: 60
; Occupancy: 16
; WaveLimiterHint : 1
; COMPUTE_PGM_RSRC2:SCRATCH_EN: 0
; COMPUTE_PGM_RSRC2:USER_SGPR: 15
; COMPUTE_PGM_RSRC2:TRAP_HANDLER: 0
; COMPUTE_PGM_RSRC2:TGID_X_EN: 1
; COMPUTE_PGM_RSRC2:TGID_Y_EN: 0
; COMPUTE_PGM_RSRC2:TGID_Z_EN: 0
; COMPUTE_PGM_RSRC2:TIDIG_COMP_CNT: 0
	.text
	.protected	dmmv_q5k_mr2            ; -- Begin function dmmv_q5k_mr2
	.globl	dmmv_q5k_mr2
	.p2align	8
	.type	dmmv_q5k_mr2,@function
dmmv_q5k_mr2:                           ; @dmmv_q5k_mr2
; %bb.0:
	s_load_b32 s12, s[0:1], 0x18
	s_add_u32 s10, s0, 24
	s_addc_u32 s11, s1, 0
	s_lshl_b32 s13, s15, 1
	s_waitcnt lgkmcnt(0)
	s_cmp_ge_u32 s13, s12
	s_cbranch_scc1 .LBB32_77
; %bb.1:
	s_clause 0x4
	s_load_b128 s[4:7], s[0:1], 0x1c
	s_load_b64 s[8:9], s[0:1], 0x10
	s_load_b32 s14, s[0:1], 0x3c
	s_load_b128 s[0:3], s[0:1], 0x0
	s_load_b64 s[10:11], s[10:11], 0x10
	v_lshrrev_b32_e32 v24, 4, v0
	v_dual_mov_b32 v23, 0 :: v_dual_mov_b32 v40, 0
	s_waitcnt lgkmcnt(0)
	s_lshr_b32 s7, s4, 8
	s_and_b32 s4, s14, 0xffff
	s_mov_b32 s14, exec_lo
	v_cmpx_gt_u32_e64 s7, v24
	s_cbranch_execz .LBB32_55
; %bb.2:
	v_dual_mov_b32 v23, 0 :: v_dual_lshlrev_b32 v2, 3, v0
	v_dual_mov_b32 v18, 0 :: v_dual_and_b32 v3, 4, v0
	v_bfe_u32 v1, v0, 3, 1
	s_and_b32 s6, s6, -4
	v_lshlrev_b32_e32 v5, 8, v24
	s_delay_alu instid0(VALU_DEP_3)
	v_and_or_b32 v2, v2, 24, v3
	s_add_u32 s2, s2, s6
	v_dual_mov_b32 v20, 0 :: v_dual_lshlrev_b32 v25, 1, v1
	v_lshlrev_b32_e32 v4, 6, v1
	v_lshlrev_b32_e32 v26, 4, v1
	v_lshl_or_b32 v1, v1, 5, v2
	s_addc_u32 s3, s3, 0
	s_lshr_b32 s17, s5, 2
	s_or_b32 s5, s13, 1
	v_lshrrev_b32_e32 v3, 2, v2
	v_lshrrev_b32_e32 v1, 2, v1
	s_lshr_b32 s6, s4, 4
	s_cmp_lt_u32 s5, s12
	s_mul_i32 s15, s15, s7
	s_cselect_b32 s5, -1, 0
	s_add_i32 s16, s13, 1
	v_dual_mov_b32 v40, 0 :: v_dual_add_nc_u32 v1, s17, v1
	v_add_nc_u32_e32 v3, s17, v3
	s_mul_i32 s16, s7, s16
	s_mul_i32 s19, s15, 0x58
	;; [unrolled: 1-line block ×3, first 2 shown]
	v_or_b32_e32 v27, 1, v25
	v_or_b32_e32 v28, 5, v25
	;; [unrolled: 1-line block ×15, first 2 shown]
	v_mul_u32_u24_e32 v43, 44, v24
	v_add_nc_u32_e32 v44, s18, v1
	v_add3_u32 v45, v3, s18, 4
	v_add_nc_u32_e32 v46, s19, v1
	v_add3_u32 v47, v3, s19, 4
	v_or3_b32 v48, v5, v4, v2
	s_mul_i32 s16, s6, 44
	s_add_i32 s15, s17, s18
	s_add_i32 s17, s17, s19
	s_lshl_b32 s19, s6, 8
	s_mov_b32 s18, 0
	s_brev_b32 s20, 1
	s_branch .LBB32_7
.LBB32_3:                               ;   in Loop: Header=BB32_7 Depth=1
	s_or_b32 exec_lo, exec_lo, s23
.LBB32_4:                               ;   in Loop: Header=BB32_7 Depth=1
	s_delay_alu instid0(SALU_CYCLE_1)
	s_or_b32 exec_lo, exec_lo, s22
.LBB32_5:                               ;   in Loop: Header=BB32_7 Depth=1
	s_delay_alu instid0(SALU_CYCLE_1) | instskip(SKIP_1) | instid1(VALU_DEP_1)
	s_or_b32 exec_lo, exec_lo, s21
	v_add_nc_u32_e32 v17, 1, v19
	v_lshlrev_b64 v[57:58], 2, v[17:18]
	v_add_nc_u32_e32 v17, 2, v19
	s_delay_alu instid0(VALU_DEP_1) | instskip(SKIP_1) | instid1(VALU_DEP_4)
	v_lshlrev_b64 v[59:60], 2, v[17:18]
	v_add_nc_u32_e32 v17, 3, v19
	v_add_co_u32 v57, vcc_lo, s0, v57
	v_add_co_ci_u32_e32 v58, vcc_lo, s1, v58, vcc_lo
	s_delay_alu instid0(VALU_DEP_4) | instskip(NEXT) | instid1(VALU_DEP_4)
	v_add_co_u32 v59, vcc_lo, s0, v59
	v_lshlrev_b64 v[61:62], 2, v[17:18]
	v_add_co_ci_u32_e32 v60, vcc_lo, s1, v60, vcc_lo
	s_clause 0x1
	global_load_b32 v19, v[57:58], off
	global_load_b32 v59, v[59:60], off
	v_add_co_u32 v57, vcc_lo, s0, v61
	v_add_co_ci_u32_e32 v58, vcc_lo, s1, v62, vcc_lo
	v_add_nc_u32_e32 v17, v43, v45
	v_add_nc_u32_e32 v61, v43, v44
	global_load_b32 v60, v[57:58], off
	v_lshlrev_b64 v[57:58], 2, v[17:18]
	v_add_nc_u32_e32 v17, 12, v61
	s_delay_alu instid0(VALU_DEP_2) | instskip(NEXT) | instid1(VALU_DEP_3)
	v_add_co_u32 v57, vcc_lo, s0, v57
	v_add_co_ci_u32_e32 v58, vcc_lo, s1, v58, vcc_lo
	global_load_b32 v62, v[57:58], off
	v_lshlrev_b64 v[57:58], 2, v[17:18]
	v_add_nc_u32_e32 v17, 28, v61
	s_delay_alu instid0(VALU_DEP_2) | instskip(NEXT) | instid1(VALU_DEP_3)
	v_add_co_u32 v57, vcc_lo, s0, v57
	v_add_co_ci_u32_e32 v58, vcc_lo, s1, v58, vcc_lo
	global_load_b32 v63, v[57:58], off
	v_lshlrev_b64 v[57:58], 2, v[17:18]
	s_delay_alu instid0(VALU_DEP_1) | instskip(NEXT) | instid1(VALU_DEP_2)
	v_add_co_u32 v57, vcc_lo, s0, v57
	v_add_co_ci_u32_e32 v58, vcc_lo, s1, v58, vcc_lo
	global_load_b32 v17, v[57:58], off
	s_waitcnt vmcnt(5)
	v_bfe_u32 v57, v19, v26, 6
	v_lshrrev_b32_e32 v19, v26, v19
	s_waitcnt vmcnt(4)
	v_lshrrev_b32_e32 v58, v26, v59
	v_bfe_u32 v59, v59, v26, 6
	v_cvt_f32_ubyte0_e32 v57, v57
	v_bfe_u32 v61, v19, 8, 6
	v_lshrrev_b32_e32 v64, 2, v19
	v_lshrrev_b32_e32 v19, 10, v19
	s_waitcnt vmcnt(3)
	v_lshrrev_b32_e32 v60, v26, v60
	v_mul_f32_e32 v57, v55, v57
	v_cvt_f32_ubyte0_e32 v61, v61
	v_and_b32_e32 v64, 48, v64
	v_bfe_u32 v65, v58, 8, 6
	v_lshrrev_b32_e32 v66, 2, v58
	v_lshrrev_b32_e32 v58, 10, v58
	v_cvt_f32_ubyte0_e32 v59, v59
	v_and_b32_e32 v19, 48, v19
	v_mul_f32_e32 v61, v55, v61
	v_and_or_b32 v64, v60, 15, v64
	v_and_b32_e32 v58, 48, v58
	v_lshrrev_b32_e32 v67, 4, v60
	v_lshrrev_b32_e32 v68, 8, v60
	;; [unrolled: 1-line block ×3, first 2 shown]
	v_dual_mul_f32 v59, v56, v59 :: v_dual_and_b32 v66, 48, v66
	v_cvt_f32_ubyte0_e32 v65, v65
	s_waitcnt vmcnt(2)
	v_lshrrev_b32_e32 v69, v25, v62
	v_lshrrev_b32_e32 v70, v30, v62
	;; [unrolled: 1-line block ×10, first 2 shown]
	v_and_or_b32 v19, v68, 15, v19
	v_and_or_b32 v58, v60, 15, v58
	s_waitcnt vmcnt(1)
	v_dual_mul_f32 v65, v56, v65 :: v_dual_and_b32 v60, 15, v63
	v_cvt_f32_ubyte0_e32 v64, v64
	v_and_or_b32 v66, v67, 15, v66
	v_lshlrev_b32_e32 v67, 4, v69
	v_lshrrev_b32_e32 v68, 8, v63
	v_lshlrev_b32_e32 v69, 4, v70
	v_lshrrev_b32_e32 v70, 16, v63
	;; [unrolled: 2-line block ×3, first 2 shown]
	v_lshrrev_b32_e32 v85, 4, v63
	v_lshlrev_b32_e32 v73, 4, v73
	v_lshrrev_b32_e32 v86, 12, v63
	v_lshlrev_b32_e32 v74, 4, v74
	v_lshrrev_b32_e32 v87, 20, v63
	v_lshlrev_b32_e32 v75, 4, v75
	v_alignbit_b32 v63, v76, v63, 28
	v_cvt_f32_ubyte0_e32 v19, v19
	v_lshlrev_b32_e32 v72, 4, v72
	v_cvt_f32_ubyte0_e32 v58, v58
	v_lshlrev_b32_e32 v76, 4, v77
	v_dual_mul_f32 v64, v55, v64 :: v_dual_lshlrev_b32 v77, 4, v78
	v_cvt_f32_ubyte0_e32 v66, v66
	v_and_or_b32 v60, v67, 16, v60
	v_and_b32_e32 v67, 16, v69
	v_and_b32_e32 v69, 16, v71
	;; [unrolled: 1-line block ×3, first 2 shown]
	v_mul_f32_e32 v19, v55, v19
	v_mul_f32_e32 v55, v56, v58
	v_and_b32_e32 v71, 16, v72
	v_and_b32_e32 v72, 16, v73
	v_and_b32_e32 v73, 16, v74
	v_and_b32_e32 v74, 16, v75
	v_and_b32_e32 v75, 16, v76
	s_waitcnt vmcnt(0)
	v_lshrrev_b32_e32 v76, 8, v17
	v_dual_mul_f32 v66, v56, v66 :: v_dual_and_b32 v63, 31, v63
	v_cvt_f32_ubyte0_e32 v56, v60
	v_and_or_b32 v58, v68, 15, v67
	v_and_or_b32 v60, v70, 15, v69
	;; [unrolled: 1-line block ×7, first 2 shown]
	v_cvt_f32_ubyte0_e32 v63, v63
	v_cvt_f32_ubyte0_e32 v58, v58
	;; [unrolled: 1-line block ×8, first 2 shown]
	v_lshrrev_b32_e32 v79, v37, v62
	v_lshrrev_b32_e32 v80, v38, v62
	;; [unrolled: 1-line block ×6, first 2 shown]
	v_fma_f32 v56, v57, v56, -v59
	v_fma_f32 v63, v61, v63, -v65
	;; [unrolled: 1-line block ×9, first 2 shown]
	v_lshlrev_b32_e32 v78, 4, v79
	v_lshlrev_b32_e32 v79, 4, v80
	v_lshrrev_b32_e32 v88, 24, v17
	v_lshrrev_b32_e32 v89, 4, v17
	v_mul_f32_e32 v65, v6, v65
	v_lshrrev_b32_e32 v90, 12, v17
	v_lshrrev_b32_e32 v91, 20, v17
	v_alignbit_b32 v62, v62, v17, 28
	v_dual_mul_f32 v67, v10, v67 :: v_dual_lshlrev_b32 v80, 4, v81
	v_lshlrev_b32_e32 v81, 4, v82
	v_lshlrev_b32_e32 v82, 4, v83
	v_lshrrev_b32_e32 v83, 16, v17
	v_and_or_b32 v17, v17, 15, v75
	v_fmac_f32_e32 v67, v9, v59
	v_dual_mul_f32 v58, v14, v58 :: v_dual_and_b32 v81, 16, v81
	v_and_b32_e32 v79, 16, v79
	s_delay_alu instid0(VALU_DEP_4) | instskip(NEXT) | instid1(VALU_DEP_4)
	v_cvt_f32_ubyte0_e32 v17, v17
	v_dual_fmac_f32 v67, v11, v61 :: v_dual_and_b32 v80, 16, v80
	s_delay_alu instid0(VALU_DEP_4) | instskip(SKIP_1) | instid1(VALU_DEP_4)
	v_and_or_b32 v75, v90, 15, v81
	v_fmac_f32_e32 v58, v13, v56
	v_fma_f32 v17, v64, v17, -v66
	s_delay_alu instid0(VALU_DEP_4) | instskip(SKIP_4) | instid1(VALU_DEP_4)
	v_fmac_f32_e32 v67, v12, v63
	v_and_or_b32 v74, v89, 15, v80
	v_cvt_f32_ubyte0_e32 v75, v75
	v_and_or_b32 v73, v88, 15, v79
	v_dual_fmac_f32 v65, v5, v17 :: v_dual_and_b32 v78, 16, v78
	v_cvt_f32_ubyte0_e32 v74, v74
	s_delay_alu instid0(VALU_DEP_4)
	v_fma_f32 v59, v19, v75, -v55
	v_fmac_f32_e32 v58, v15, v60
	v_cvt_f32_ubyte0_e32 v73, v73
	v_and_or_b32 v72, v83, 15, v78
	v_fma_f32 v60, v19, v74, -v55
	v_dual_mul_f32 v17, v2, v59 :: v_dual_and_b32 v82, 16, v82
	v_fmac_f32_e32 v58, v16, v57
	s_delay_alu instid0(VALU_DEP_4) | instskip(NEXT) | instid1(VALU_DEP_3)
	v_cvt_f32_ubyte0_e32 v72, v72
	v_fmac_f32_e32 v17, v1, v60
	s_delay_alu instid0(VALU_DEP_4) | instskip(NEXT) | instid1(VALU_DEP_3)
	v_and_or_b32 v76, v91, 15, v82
	v_fma_f32 v56, v64, v72, -v66
	v_fma_f32 v64, v64, v73, -v66
	s_delay_alu instid0(VALU_DEP_3) | instskip(NEXT) | instid1(VALU_DEP_3)
	v_cvt_f32_ubyte0_e32 v76, v76
	v_dual_fmac_f32 v65, v7, v56 :: v_dual_and_b32 v62, 31, v62
	v_add_f32_e32 v56, 0, v58
	s_delay_alu instid0(VALU_DEP_3) | instskip(NEXT) | instid1(VALU_DEP_3)
	v_fma_f32 v57, v19, v76, -v55
	v_fmac_f32_e32 v65, v8, v64
	s_delay_alu instid0(VALU_DEP_4) | instskip(NEXT) | instid1(VALU_DEP_3)
	v_cvt_f32_ubyte0_e32 v62, v62
	v_fmac_f32_e32 v17, v3, v57
	s_delay_alu instid0(VALU_DEP_2) | instskip(SKIP_1) | instid1(VALU_DEP_2)
	v_fma_f32 v19, v19, v62, -v55
	v_add_f32_e32 v55, v67, v56
	v_fmac_f32_e32 v17, v4, v19
	s_delay_alu instid0(VALU_DEP_2) | instskip(NEXT) | instid1(VALU_DEP_1)
	v_add_f32_e32 v55, v65, v55
	v_add_f32_e32 v17, v17, v55
	s_delay_alu instid0(VALU_DEP_1)
	v_add_f32_e32 v23, v23, v17
.LBB32_6:                               ;   in Loop: Header=BB32_7 Depth=1
	s_waitcnt vmcnt(5)
	v_lshrrev_b32_e32 v17, v26, v54
	s_waitcnt vmcnt(4)
	v_lshrrev_b32_e32 v19, v26, v52
	;; [unrolled: 2-line block ×4, first 2 shown]
	v_bfe_u32 v54, v54, v26, 6
	v_bfe_u32 v57, v17, 8, 6
	v_bfe_u32 v58, v19, 8, 6
	v_lshrrev_b32_e32 v60, 2, v19
	v_lshrrev_b32_e32 v55, 2, v17
	;; [unrolled: 1-line block ×4, first 2 shown]
	v_cvt_f32_ubyte0_e32 v57, v57
	v_cvt_f32_ubyte0_e32 v58, v58
	v_and_b32_e32 v60, 48, v60
	v_bfe_u32 v52, v52, v26, 6
	v_and_b32_e32 v17, 48, v17
	s_delay_alu instid0(VALU_DEP_4) | instskip(NEXT) | instid1(VALU_DEP_4)
	v_dual_mul_f32 v57, v22, v57 :: v_dual_mul_f32 v58, v49, v58
	v_and_or_b32 v59, v59, 15, v60
	v_lshrrev_b32_e32 v60, 8, v53
	v_cvt_f32_ubyte0_e32 v54, v54
	v_and_b32_e32 v55, 48, v55
	s_waitcnt vmcnt(1)
	v_lshrrev_b32_e32 v62, 8, v51
	v_cvt_f32_ubyte0_e32 v59, v59
	v_lshlrev_b32_e32 v56, 4, v56
	v_and_or_b32 v17, v60, 15, v17
	v_cvt_f32_ubyte0_e32 v52, v52
	s_delay_alu instid0(VALU_DEP_4) | instskip(SKIP_1) | instid1(VALU_DEP_4)
	v_dual_mul_f32 v54, v22, v54 :: v_dual_mul_f32 v59, v49, v59
	v_and_or_b32 v55, v53, 15, v55
	v_cvt_f32_ubyte0_e32 v17, v17
	v_and_b32_e32 v56, 16, v56
	v_lshrrev_b32_e32 v61, v25, v50
	v_and_b32_e32 v60, 15, v51
	v_cvt_f32_ubyte0_e32 v55, v55
	v_mul_f32_e32 v17, v22, v17
	v_and_or_b32 v56, v62, 15, v56
	v_mul_f32_e32 v52, v49, v52
	v_lshrrev_b32_e32 v19, 10, v19
	v_mul_f32_e32 v55, v22, v55
	v_lshrrev_b32_e32 v53, 12, v53
	v_cvt_f32_ubyte0_e32 v56, v56
	v_lshrrev_b32_e32 v62, v31, v50
	v_lshrrev_b32_e32 v63, 16, v51
	v_add_nc_u32_e32 v24, s6, v24
	v_add_nc_u32_e32 v44, s16, v44
	v_fma_f32 v56, v54, v56, -v52
	v_lshlrev_b32_e32 v61, 4, v61
	v_add_nc_u32_e32 v45, s16, v45
	v_cmp_le_u32_e32 vcc_lo, s7, v24
	v_add_nc_u32_e32 v46, s16, v46
	v_mul_f32_e32 v14, v14, v56
	v_and_or_b32 v60, v61, 16, v60
	v_and_b32_e32 v19, 48, v19
	v_add_nc_u32_e32 v48, s19, v48
	s_add_i32 s15, s15, s16
	s_add_i32 s17, s17, s16
	v_cvt_f32_ubyte0_e32 v60, v60
	v_and_or_b32 v19, v53, 15, v19
	s_or_b32 s18, vcc_lo, s18
	v_add_nc_u32_e32 v47, s16, v47
	s_delay_alu instid0(VALU_DEP_3) | instskip(NEXT) | instid1(VALU_DEP_3)
	v_fma_f32 v53, v54, v60, -v52
	v_cvt_f32_ubyte0_e32 v19, v19
	s_delay_alu instid0(VALU_DEP_2) | instskip(SKIP_1) | instid1(VALU_DEP_3)
	v_dual_fmac_f32 v14, v13, v53 :: v_dual_lshlrev_b32 v61, 4, v62
	v_lshrrev_b32_e32 v62, v32, v50
	v_mul_f32_e32 v19, v49, v19
	v_lshrrev_b32_e32 v49, v29, v50
	s_delay_alu instid0(VALU_DEP_4) | instskip(NEXT) | instid1(VALU_DEP_4)
	v_and_b32_e32 v61, 16, v61
	v_lshlrev_b32_e32 v60, 4, v62
	v_lshrrev_b32_e32 v62, 24, v51
	s_delay_alu instid0(VALU_DEP_3) | instskip(NEXT) | instid1(VALU_DEP_3)
	v_and_or_b32 v56, v63, 15, v61
	v_and_b32_e32 v60, 16, v60
	v_lshrrev_b32_e32 v63, v27, v50
	v_lshrrev_b32_e32 v61, v33, v50
	s_delay_alu instid0(VALU_DEP_4) | instskip(NEXT) | instid1(VALU_DEP_4)
	v_cvt_f32_ubyte0_e32 v53, v56
	v_and_or_b32 v56, v62, 15, v60
	s_delay_alu instid0(VALU_DEP_4) | instskip(SKIP_1) | instid1(VALU_DEP_4)
	v_lshlrev_b32_e32 v60, 4, v63
	v_lshrrev_b32_e32 v62, 4, v51
	v_fma_f32 v53, v54, v53, -v52
	s_delay_alu instid0(VALU_DEP_4) | instskip(NEXT) | instid1(VALU_DEP_4)
	v_cvt_f32_ubyte0_e32 v56, v56
	v_and_b32_e32 v60, 16, v60
	s_delay_alu instid0(VALU_DEP_3) | instskip(NEXT) | instid1(VALU_DEP_3)
	v_fmac_f32_e32 v14, v15, v53
	v_fma_f32 v15, v54, v56, -v52
	s_delay_alu instid0(VALU_DEP_3) | instskip(NEXT) | instid1(VALU_DEP_2)
	v_and_or_b32 v22, v62, 15, v60
	v_dual_fmac_f32 v14, v16, v15 :: v_dual_lshlrev_b32 v13, 4, v61
	s_delay_alu instid0(VALU_DEP_2) | instskip(SKIP_2) | instid1(VALU_DEP_4)
	v_cvt_f32_ubyte0_e32 v16, v22
	v_lshrrev_b32_e32 v61, 12, v51
	v_lshrrev_b32_e32 v15, v34, v50
	v_add_f32_e32 v14, 0, v14
	v_lshrrev_b32_e32 v22, 20, v51
	v_fma_f32 v16, v57, v16, -v58
	v_and_b32_e32 v13, 16, v13
	s_delay_alu instid0(VALU_DEP_1) | instskip(NEXT) | instid1(VALU_DEP_1)
	v_and_or_b32 v13, v61, 15, v13
	v_cvt_f32_ubyte0_e32 v13, v13
	s_delay_alu instid0(VALU_DEP_1) | instskip(NEXT) | instid1(VALU_DEP_1)
	v_fma_f32 v13, v57, v13, -v58
	v_dual_mul_f32 v10, v10, v13 :: v_dual_lshlrev_b32 v15, 4, v15
	s_delay_alu instid0(VALU_DEP_1) | instskip(SKIP_1) | instid1(VALU_DEP_3)
	v_and_b32_e32 v15, 16, v15
	v_lshrrev_b32_e32 v13, v36, v50
	v_fmac_f32_e32 v10, v9, v16
	s_delay_alu instid0(VALU_DEP_3)
	v_and_or_b32 v15, v22, 15, v15
	v_lshlrev_b32_e32 v16, 4, v49
	s_waitcnt vmcnt(0)
	v_lshrrev_b32_e32 v22, 8, v21
	v_lshrrev_b32_e32 v49, v37, v50
	v_cvt_f32_ubyte0_e32 v15, v15
	v_and_b32_e32 v16, 16, v16
	s_delay_alu instid0(VALU_DEP_2) | instskip(SKIP_2) | instid1(VALU_DEP_4)
	v_fma_f32 v15, v57, v15, -v58
	v_lshlrev_b32_e32 v9, 4, v13
	v_lshrrev_b32_e32 v13, v35, v50
	v_and_or_b32 v16, v21, 15, v16
	s_delay_alu instid0(VALU_DEP_4) | instskip(NEXT) | instid1(VALU_DEP_3)
	v_fmac_f32_e32 v10, v11, v15
	v_alignbit_b32 v13, v13, v51, 28
	s_delay_alu instid0(VALU_DEP_3) | instskip(NEXT) | instid1(VALU_DEP_1)
	v_cvt_f32_ubyte0_e32 v16, v16
	v_fma_f32 v15, v55, v16, -v59
	s_delay_alu instid0(VALU_DEP_3) | instskip(SKIP_1) | instid1(VALU_DEP_2)
	v_and_b32_e32 v13, 31, v13
	v_lshrrev_b32_e32 v16, 4, v21
	v_cvt_f32_ubyte0_e32 v13, v13
	s_delay_alu instid0(VALU_DEP_1) | instskip(NEXT) | instid1(VALU_DEP_1)
	v_fma_f32 v11, v57, v13, -v58
	v_dual_fmac_f32 v10, v12, v11 :: v_dual_and_b32 v9, 16, v9
	s_delay_alu instid0(VALU_DEP_1) | instskip(SKIP_3) | instid1(VALU_DEP_4)
	v_and_or_b32 v9, v22, 15, v9
	v_lshlrev_b32_e32 v22, 4, v49
	v_lshrrev_b32_e32 v12, v28, v50
	v_lshrrev_b32_e32 v49, 16, v21
	v_cvt_f32_ubyte0_e32 v9, v9
	s_delay_alu instid0(VALU_DEP_4) | instskip(NEXT) | instid1(VALU_DEP_4)
	v_and_b32_e32 v22, 16, v22
	v_lshlrev_b32_e32 v12, 4, v12
	s_delay_alu instid0(VALU_DEP_3) | instskip(NEXT) | instid1(VALU_DEP_3)
	v_fma_f32 v9, v55, v9, -v59
	v_and_or_b32 v13, v49, 15, v22
	s_delay_alu instid0(VALU_DEP_3) | instskip(SKIP_1) | instid1(VALU_DEP_4)
	v_and_b32_e32 v12, 16, v12
	v_lshrrev_b32_e32 v22, v42, v50
	v_mul_f32_e32 v6, v6, v9
	v_lshrrev_b32_e32 v9, v39, v50
	v_cvt_f32_ubyte0_e32 v11, v13
	v_and_or_b32 v12, v16, 15, v12
	v_lshrrev_b32_e32 v13, 12, v21
	v_fmac_f32_e32 v6, v5, v15
	v_lshrrev_b32_e32 v15, v41, v50
	v_fma_f32 v11, v55, v11, -v59
	v_lshlrev_b32_e32 v5, 4, v9
	v_cvt_f32_ubyte0_e32 v12, v12
	v_lshrrev_b32_e32 v9, v38, v50
	v_lshrrev_b32_e32 v16, 20, v21
	v_fmac_f32_e32 v6, v7, v11
	s_delay_alu instid0(VALU_DEP_4) | instskip(SKIP_2) | instid1(VALU_DEP_2)
	v_fma_f32 v12, v17, v12, -v19
	v_and_b32_e32 v5, 16, v5
	v_lshlrev_b32_e32 v9, 4, v9
	v_and_or_b32 v5, v13, 15, v5
	v_lshrrev_b32_e32 v13, 24, v21
	s_delay_alu instid0(VALU_DEP_3) | instskip(NEXT) | instid1(VALU_DEP_3)
	v_and_b32_e32 v9, 16, v9
	v_cvt_f32_ubyte0_e32 v5, v5
	s_delay_alu instid0(VALU_DEP_2) | instskip(NEXT) | instid1(VALU_DEP_2)
	v_and_or_b32 v9, v13, 15, v9
	v_fma_f32 v5, v17, v5, -v19
	v_lshlrev_b32_e32 v15, 4, v15
	s_delay_alu instid0(VALU_DEP_3) | instskip(NEXT) | instid1(VALU_DEP_3)
	v_cvt_f32_ubyte0_e32 v9, v9
	v_mul_f32_e32 v2, v2, v5
	s_delay_alu instid0(VALU_DEP_2) | instskip(NEXT) | instid1(VALU_DEP_2)
	v_fma_f32 v7, v55, v9, -v59
	v_dual_add_f32 v9, v10, v14 :: v_dual_fmac_f32 v2, v1, v12
	v_and_b32_e32 v15, 16, v15
	s_delay_alu instid0(VALU_DEP_3) | instskip(NEXT) | instid1(VALU_DEP_2)
	v_fmac_f32_e32 v6, v8, v7
	v_and_or_b32 v13, v16, 15, v15
	v_alignbit_b32 v15, v22, v21, 28
	s_delay_alu instid0(VALU_DEP_2) | instskip(NEXT) | instid1(VALU_DEP_1)
	v_cvt_f32_ubyte0_e32 v5, v13
	v_fma_f32 v1, v17, v5, -v19
	s_delay_alu instid0(VALU_DEP_1) | instskip(SKIP_1) | instid1(VALU_DEP_2)
	v_dual_fmac_f32 v2, v3, v1 :: v_dual_and_b32 v13, 31, v15
	v_add_f32_e32 v3, v6, v9
	v_cvt_f32_ubyte0_e32 v5, v13
	s_delay_alu instid0(VALU_DEP_1) | instskip(NEXT) | instid1(VALU_DEP_1)
	v_fma_f32 v1, v17, v5, -v19
	v_fmac_f32_e32 v2, v4, v1
	s_delay_alu instid0(VALU_DEP_1) | instskip(NEXT) | instid1(VALU_DEP_1)
	v_add_f32_e32 v1, v2, v3
	v_add_f32_e32 v40, v40, v1
	s_and_not1_b32 exec_lo, exec_lo, s18
	s_cbranch_execz .LBB32_54
.LBB32_7:                               ; =>This Inner Loop Header: Depth=1
	v_dual_mov_b32 v22, v18 :: v_dual_add_nc_u32 v21, s17, v43
	v_lshrrev_b32_e32 v17, 2, v48
	s_mov_b32 s21, exec_lo
	s_delay_alu instid0(VALU_DEP_2) | instskip(NEXT) | instid1(VALU_DEP_2)
	v_lshlrev_b64 v[1:2], 2, v[21:22]
	v_lshlrev_b64 v[3:4], 4, v[17:18]
                                        ; implicit-def: $vgpr22
	s_delay_alu instid0(VALU_DEP_2) | instskip(NEXT) | instid1(VALU_DEP_3)
	v_add_co_u32 v1, vcc_lo, s0, v1
	v_add_co_ci_u32_e32 v2, vcc_lo, s1, v2, vcc_lo
	global_load_b32 v17, v[1:2], off
	v_add_co_u32 v1, vcc_lo, s2, v3
	v_add_co_ci_u32_e32 v2, vcc_lo, s3, v4, vcc_lo
	s_clause 0x3
	global_load_b128 v[13:16], v[1:2], off
	global_load_b128 v[9:12], v[1:2], off offset:128
	global_load_b128 v[5:8], v[1:2], off offset:512
	;; [unrolled: 1-line block ×3, first 2 shown]
	s_waitcnt vmcnt(4)
	v_bfe_u32 v49, v17, 10, 5
	v_bfe_u32 v19, v17, 15, 1
	s_delay_alu instid0(VALU_DEP_2)
	v_cmpx_lt_i32_e32 30, v49
	s_xor_b32 s21, exec_lo, s21
; %bb.8:                                ;   in Loop: Header=BB32_7 Depth=1
	v_and_b32_e32 v22, 0xffff, v17
	s_delay_alu instid0(VALU_DEP_3) | instskip(NEXT) | instid1(VALU_DEP_2)
	v_lshlrev_b32_e32 v19, 31, v19
                                        ; implicit-def: $vgpr49
	v_lshlrev_b32_e32 v22, 13, v22
	s_delay_alu instid0(VALU_DEP_1)
	v_or3_b32 v22, v19, v22, 0x7f800000
                                        ; implicit-def: $vgpr19
; %bb.9:                                ;   in Loop: Header=BB32_7 Depth=1
	s_and_not1_saveexec_b32 s21, s21
	s_cbranch_execz .LBB32_19
; %bb.10:                               ;   in Loop: Header=BB32_7 Depth=1
	v_and_b32_e32 v50, 0x3ff, v17
	s_mov_b32 s22, exec_lo
                                        ; implicit-def: $vgpr22
	v_cmpx_ne_u32_e32 0, v49
	s_xor_b32 s22, exec_lo, s22
; %bb.11:                               ;   in Loop: Header=BB32_7 Depth=1
	v_lshlrev_b32_e32 v19, 31, v19
	v_lshlrev_b32_e32 v22, 23, v49
	;; [unrolled: 1-line block ×3, first 2 shown]
                                        ; implicit-def: $vgpr50
	s_delay_alu instid0(VALU_DEP_1) | instskip(NEXT) | instid1(VALU_DEP_1)
	v_or3_b32 v19, v22, v19, v49
	v_add_nc_u32_e32 v22, 0x38000000, v19
                                        ; implicit-def: $vgpr19
; %bb.12:                               ;   in Loop: Header=BB32_7 Depth=1
	s_and_not1_saveexec_b32 s22, s22
	s_cbranch_execz .LBB32_18
; %bb.13:                               ;   in Loop: Header=BB32_7 Depth=1
	s_mov_b32 s23, exec_lo
                                        ; implicit-def: $vgpr22
	v_cmpx_ne_u32_e32 0, v50
	s_xor_b32 s23, exec_lo, s23
; %bb.14:                               ;   in Loop: Header=BB32_7 Depth=1
	v_clz_i32_u32_e32 v22, v50
	v_lshl_or_b32 v19, v19, 31, 0x43000000
	s_delay_alu instid0(VALU_DEP_2) | instskip(SKIP_1) | instid1(VALU_DEP_2)
	v_xor_b32_e32 v49, 31, v22
	v_lshlrev_b32_e32 v22, 23, v22
	v_sub_nc_u32_e32 v49, 9, v49
	s_delay_alu instid0(VALU_DEP_2) | instskip(NEXT) | instid1(VALU_DEP_2)
	v_sub_nc_u32_e32 v19, v19, v22
	v_lshlrev_b32_e32 v49, v49, v17
	s_delay_alu instid0(VALU_DEP_1) | instskip(NEXT) | instid1(VALU_DEP_1)
	v_lshlrev_b32_e32 v49, 14, v49
	v_and_or_b32 v22, 0x7fc000, v49, v19
                                        ; implicit-def: $vgpr19
; %bb.15:                               ;   in Loop: Header=BB32_7 Depth=1
	s_and_not1_saveexec_b32 s23, s23
; %bb.16:                               ;   in Loop: Header=BB32_7 Depth=1
	v_lshlrev_b32_e32 v22, 31, v19
; %bb.17:                               ;   in Loop: Header=BB32_7 Depth=1
	s_or_b32 exec_lo, exec_lo, s23
.LBB32_18:                              ;   in Loop: Header=BB32_7 Depth=1
	s_delay_alu instid0(SALU_CYCLE_1)
	s_or_b32 exec_lo, exec_lo, s22
.LBB32_19:                              ;   in Loop: Header=BB32_7 Depth=1
	s_delay_alu instid0(SALU_CYCLE_1) | instskip(SKIP_3) | instid1(VALU_DEP_2)
	s_or_b32 exec_lo, exec_lo, s21
	v_bfe_u32 v50, v17, 26, 5
	v_lshrrev_b32_e32 v19, 16, v17
	s_mov_b32 s21, exec_lo
                                        ; implicit-def: $vgpr49
	v_cmpx_lt_i32_e32 30, v50
	s_xor_b32 s21, exec_lo, s21
; %bb.20:                               ;   in Loop: Header=BB32_7 Depth=1
	v_and_b32_e32 v17, 0x80000000, v17
	v_lshlrev_b32_e32 v19, 13, v19
                                        ; implicit-def: $vgpr50
	s_delay_alu instid0(VALU_DEP_1)
	v_or3_b32 v49, v19, v17, 0x7f800000
                                        ; implicit-def: $vgpr19
                                        ; implicit-def: $vgpr17
; %bb.21:                               ;   in Loop: Header=BB32_7 Depth=1
	s_and_not1_saveexec_b32 s21, s21
	s_cbranch_execz .LBB32_31
; %bb.22:                               ;   in Loop: Header=BB32_7 Depth=1
	v_and_b32_e32 v51, 0x3ff, v19
	s_mov_b32 s22, exec_lo
                                        ; implicit-def: $vgpr49
	v_cmpx_ne_u32_e32 0, v50
	s_xor_b32 s22, exec_lo, s22
; %bb.23:                               ;   in Loop: Header=BB32_7 Depth=1
	v_and_b32_e32 v17, 0x80000000, v17
	v_lshlrev_b32_e32 v19, 23, v50
	v_lshlrev_b32_e32 v49, 13, v51
                                        ; implicit-def: $vgpr51
	s_delay_alu instid0(VALU_DEP_1) | instskip(NEXT) | instid1(VALU_DEP_1)
	v_or3_b32 v17, v19, v17, v49
                                        ; implicit-def: $vgpr19
	v_add_nc_u32_e32 v49, 0x38000000, v17
                                        ; implicit-def: $vgpr17
; %bb.24:                               ;   in Loop: Header=BB32_7 Depth=1
	s_and_not1_saveexec_b32 s22, s22
	s_cbranch_execz .LBB32_30
; %bb.25:                               ;   in Loop: Header=BB32_7 Depth=1
	s_mov_b32 s23, exec_lo
                                        ; implicit-def: $vgpr49
	v_cmpx_ne_u32_e32 0, v51
	s_xor_b32 s23, exec_lo, s23
; %bb.26:                               ;   in Loop: Header=BB32_7 Depth=1
	v_clz_i32_u32_e32 v49, v51
	v_and_or_b32 v17, v17, s20, 0x43000000
	s_delay_alu instid0(VALU_DEP_2) | instskip(SKIP_1) | instid1(VALU_DEP_2)
	v_xor_b32_e32 v50, 31, v49
	v_lshlrev_b32_e32 v49, 23, v49
	v_sub_nc_u32_e32 v50, 9, v50
	s_delay_alu instid0(VALU_DEP_2) | instskip(NEXT) | instid1(VALU_DEP_2)
	v_sub_nc_u32_e32 v17, v17, v49
	v_lshlrev_b32_e32 v19, v50, v19
	s_delay_alu instid0(VALU_DEP_1) | instskip(NEXT) | instid1(VALU_DEP_1)
	v_lshlrev_b32_e32 v19, 14, v19
	v_and_or_b32 v49, 0x7fc000, v19, v17
                                        ; implicit-def: $vgpr17
; %bb.27:                               ;   in Loop: Header=BB32_7 Depth=1
	s_and_not1_saveexec_b32 s23, s23
; %bb.28:                               ;   in Loop: Header=BB32_7 Depth=1
	v_and_b32_e32 v49, 0x80000000, v17
; %bb.29:                               ;   in Loop: Header=BB32_7 Depth=1
	s_or_b32 exec_lo, exec_lo, s23
.LBB32_30:                              ;   in Loop: Header=BB32_7 Depth=1
	s_delay_alu instid0(SALU_CYCLE_1)
	s_or_b32 exec_lo, exec_lo, s22
.LBB32_31:                              ;   in Loop: Header=BB32_7 Depth=1
	s_delay_alu instid0(SALU_CYCLE_1) | instskip(SKIP_2) | instid1(VALU_DEP_2)
	s_or_b32 exec_lo, exec_lo, s21
	v_add_nc_u32_e32 v17, 1, v21
	v_add_nc_u32_e32 v19, v43, v46
	v_lshlrev_b64 v[50:51], 2, v[17:18]
	v_add_nc_u32_e32 v17, 2, v21
	s_delay_alu instid0(VALU_DEP_1) | instskip(SKIP_1) | instid1(VALU_DEP_4)
	v_lshlrev_b64 v[52:53], 2, v[17:18]
	v_add_nc_u32_e32 v17, 3, v21
	v_add_co_u32 v50, vcc_lo, s0, v50
	v_add_co_ci_u32_e32 v51, vcc_lo, s1, v51, vcc_lo
	s_delay_alu instid0(VALU_DEP_3) | instskip(SKIP_3) | instid1(VALU_DEP_3)
	v_lshlrev_b64 v[54:55], 2, v[17:18]
	v_add_nc_u32_e32 v17, v43, v47
	v_add_co_u32 v52, vcc_lo, s0, v52
	v_add_co_ci_u32_e32 v53, vcc_lo, s1, v53, vcc_lo
	v_lshlrev_b64 v[56:57], 2, v[17:18]
	v_add_nc_u32_e32 v17, 12, v19
	v_add_co_u32 v58, vcc_lo, s0, v54
	v_add_co_ci_u32_e32 v59, vcc_lo, s1, v55, vcc_lo
	s_delay_alu instid0(VALU_DEP_3) | instskip(SKIP_3) | instid1(VALU_DEP_3)
	v_lshlrev_b64 v[54:55], 2, v[17:18]
	v_add_nc_u32_e32 v17, 28, v19
	v_add_co_u32 v56, vcc_lo, s0, v56
	v_add_co_ci_u32_e32 v57, vcc_lo, s1, v57, vcc_lo
	v_lshlrev_b64 v[60:61], 2, v[17:18]
	v_add_co_u32 v62, vcc_lo, s0, v54
	v_add_co_ci_u32_e32 v63, vcc_lo, s1, v55, vcc_lo
	s_delay_alu instid0(VALU_DEP_3) | instskip(NEXT) | instid1(VALU_DEP_4)
	v_add_co_u32 v60, vcc_lo, s0, v60
	v_add_co_ci_u32_e32 v61, vcc_lo, s1, v61, vcc_lo
	s_clause 0x5
	global_load_b32 v54, v[50:51], off
	global_load_b32 v52, v[52:53], off
	;; [unrolled: 1-line block ×6, first 2 shown]
	s_and_not1_b32 vcc_lo, exec_lo, s5
	s_cbranch_vccnz .LBB32_6
; %bb.32:                               ;   in Loop: Header=BB32_7 Depth=1
	v_add_nc_u32_e32 v19, s15, v43
	s_mov_b32 s21, exec_lo
	s_delay_alu instid0(VALU_DEP_1) | instskip(NEXT) | instid1(VALU_DEP_1)
	v_lshlrev_b64 v[55:56], 2, v[19:20]
	v_add_co_u32 v55, vcc_lo, s0, v55
	s_delay_alu instid0(VALU_DEP_2) | instskip(SKIP_4) | instid1(VALU_DEP_2)
	v_add_co_ci_u32_e32 v56, vcc_lo, s1, v56, vcc_lo
	global_load_b32 v17, v[55:56], off
                                        ; implicit-def: $vgpr55
	s_waitcnt vmcnt(0)
	v_bfe_u32 v57, v17, 10, 5
	v_bfe_u32 v56, v17, 15, 1
	v_cmpx_lt_i32_e32 30, v57
	s_xor_b32 s21, exec_lo, s21
; %bb.33:                               ;   in Loop: Header=BB32_7 Depth=1
	v_and_b32_e32 v55, 0xffff, v17
	s_delay_alu instid0(VALU_DEP_3) | instskip(NEXT) | instid1(VALU_DEP_2)
	v_lshlrev_b32_e32 v56, 31, v56
                                        ; implicit-def: $vgpr57
	v_lshlrev_b32_e32 v55, 13, v55
	s_delay_alu instid0(VALU_DEP_1)
	v_or3_b32 v55, v56, v55, 0x7f800000
                                        ; implicit-def: $vgpr56
; %bb.34:                               ;   in Loop: Header=BB32_7 Depth=1
	s_and_not1_saveexec_b32 s21, s21
	s_cbranch_execz .LBB32_44
; %bb.35:                               ;   in Loop: Header=BB32_7 Depth=1
	v_and_b32_e32 v58, 0x3ff, v17
	s_mov_b32 s22, exec_lo
                                        ; implicit-def: $vgpr55
	v_cmpx_ne_u32_e32 0, v57
	s_xor_b32 s22, exec_lo, s22
; %bb.36:                               ;   in Loop: Header=BB32_7 Depth=1
	v_lshlrev_b32_e32 v55, 31, v56
	v_lshlrev_b32_e32 v56, 23, v57
	;; [unrolled: 1-line block ×3, first 2 shown]
                                        ; implicit-def: $vgpr58
	s_delay_alu instid0(VALU_DEP_1) | instskip(NEXT) | instid1(VALU_DEP_1)
	v_or3_b32 v55, v56, v55, v57
                                        ; implicit-def: $vgpr56
	v_add_nc_u32_e32 v55, 0x38000000, v55
; %bb.37:                               ;   in Loop: Header=BB32_7 Depth=1
	s_and_not1_saveexec_b32 s22, s22
	s_cbranch_execz .LBB32_43
; %bb.38:                               ;   in Loop: Header=BB32_7 Depth=1
	s_mov_b32 s23, exec_lo
                                        ; implicit-def: $vgpr55
	v_cmpx_ne_u32_e32 0, v58
	s_xor_b32 s23, exec_lo, s23
; %bb.39:                               ;   in Loop: Header=BB32_7 Depth=1
	v_clz_i32_u32_e32 v55, v58
	v_lshl_or_b32 v56, v56, 31, 0x43000000
	s_delay_alu instid0(VALU_DEP_2) | instskip(SKIP_1) | instid1(VALU_DEP_2)
	v_xor_b32_e32 v57, 31, v55
	v_lshlrev_b32_e32 v55, 23, v55
	v_sub_nc_u32_e32 v57, 9, v57
	s_delay_alu instid0(VALU_DEP_2) | instskip(NEXT) | instid1(VALU_DEP_2)
	v_sub_nc_u32_e32 v55, v56, v55
                                        ; implicit-def: $vgpr56
	v_lshlrev_b32_e32 v57, v57, v17
	s_delay_alu instid0(VALU_DEP_1) | instskip(NEXT) | instid1(VALU_DEP_1)
	v_lshlrev_b32_e32 v57, 14, v57
	v_and_or_b32 v55, 0x7fc000, v57, v55
; %bb.40:                               ;   in Loop: Header=BB32_7 Depth=1
	s_and_not1_saveexec_b32 s23, s23
; %bb.41:                               ;   in Loop: Header=BB32_7 Depth=1
	v_lshlrev_b32_e32 v55, 31, v56
; %bb.42:                               ;   in Loop: Header=BB32_7 Depth=1
	s_or_b32 exec_lo, exec_lo, s23
.LBB32_43:                              ;   in Loop: Header=BB32_7 Depth=1
	s_delay_alu instid0(SALU_CYCLE_1)
	s_or_b32 exec_lo, exec_lo, s22
.LBB32_44:                              ;   in Loop: Header=BB32_7 Depth=1
	s_delay_alu instid0(SALU_CYCLE_1) | instskip(SKIP_3) | instid1(VALU_DEP_2)
	s_or_b32 exec_lo, exec_lo, s21
	v_bfe_u32 v58, v17, 26, 5
	v_lshrrev_b32_e32 v57, 16, v17
	s_mov_b32 s21, exec_lo
                                        ; implicit-def: $vgpr56
	v_cmpx_lt_i32_e32 30, v58
	s_xor_b32 s21, exec_lo, s21
; %bb.45:                               ;   in Loop: Header=BB32_7 Depth=1
	v_and_b32_e32 v17, 0x80000000, v17
	v_lshlrev_b32_e32 v56, 13, v57
                                        ; implicit-def: $vgpr57
                                        ; implicit-def: $vgpr58
	s_delay_alu instid0(VALU_DEP_1)
	v_or3_b32 v56, v56, v17, 0x7f800000
                                        ; implicit-def: $vgpr17
; %bb.46:                               ;   in Loop: Header=BB32_7 Depth=1
	s_and_not1_saveexec_b32 s21, s21
	s_cbranch_execz .LBB32_5
; %bb.47:                               ;   in Loop: Header=BB32_7 Depth=1
	v_and_b32_e32 v59, 0x3ff, v57
	s_mov_b32 s22, exec_lo
                                        ; implicit-def: $vgpr56
	v_cmpx_ne_u32_e32 0, v58
	s_xor_b32 s22, exec_lo, s22
; %bb.48:                               ;   in Loop: Header=BB32_7 Depth=1
	v_and_b32_e32 v17, 0x80000000, v17
	v_lshlrev_b32_e32 v56, 23, v58
	v_lshlrev_b32_e32 v57, 13, v59
                                        ; implicit-def: $vgpr59
	s_delay_alu instid0(VALU_DEP_1) | instskip(NEXT) | instid1(VALU_DEP_1)
	v_or3_b32 v17, v56, v17, v57
                                        ; implicit-def: $vgpr57
	v_add_nc_u32_e32 v56, 0x38000000, v17
                                        ; implicit-def: $vgpr17
; %bb.49:                               ;   in Loop: Header=BB32_7 Depth=1
	s_and_not1_saveexec_b32 s22, s22
	s_cbranch_execz .LBB32_4
; %bb.50:                               ;   in Loop: Header=BB32_7 Depth=1
	s_mov_b32 s23, exec_lo
                                        ; implicit-def: $vgpr56
	v_cmpx_ne_u32_e32 0, v59
	s_xor_b32 s23, exec_lo, s23
; %bb.51:                               ;   in Loop: Header=BB32_7 Depth=1
	v_clz_i32_u32_e32 v56, v59
	v_and_or_b32 v17, v17, s20, 0x43000000
	s_delay_alu instid0(VALU_DEP_2) | instskip(SKIP_1) | instid1(VALU_DEP_2)
	v_xor_b32_e32 v58, 31, v56
	v_lshlrev_b32_e32 v56, 23, v56
	v_sub_nc_u32_e32 v58, 9, v58
	s_delay_alu instid0(VALU_DEP_2) | instskip(NEXT) | instid1(VALU_DEP_2)
	v_sub_nc_u32_e32 v17, v17, v56
	v_lshlrev_b32_e32 v57, v58, v57
	s_delay_alu instid0(VALU_DEP_1) | instskip(NEXT) | instid1(VALU_DEP_1)
	v_lshlrev_b32_e32 v57, 14, v57
	v_and_or_b32 v56, 0x7fc000, v57, v17
                                        ; implicit-def: $vgpr17
; %bb.52:                               ;   in Loop: Header=BB32_7 Depth=1
	s_and_not1_saveexec_b32 s23, s23
	s_cbranch_execz .LBB32_3
; %bb.53:                               ;   in Loop: Header=BB32_7 Depth=1
	v_and_b32_e32 v56, 0x80000000, v17
	s_branch .LBB32_3
.LBB32_54:
	s_or_b32 exec_lo, exec_lo, s18
.LBB32_55:
	s_delay_alu instid0(SALU_CYCLE_1) | instskip(SKIP_1) | instid1(VALU_DEP_1)
	s_or_b32 exec_lo, exec_lo, s14
	v_mbcnt_lo_u32_b32 v5, -1, 0
	v_cmp_gt_u32_e32 vcc_lo, 16, v5
	v_cndmask_b32_e64 v1, 0, 1, vcc_lo
	v_cmp_gt_u32_e32 vcc_lo, 24, v5
	s_delay_alu instid0(VALU_DEP_2) | instskip(SKIP_2) | instid1(VALU_DEP_3)
	v_lshlrev_b32_e32 v1, 4, v1
	v_cndmask_b32_e64 v2, 0, 1, vcc_lo
	v_cmp_gt_u32_e32 vcc_lo, 28, v5
	v_add_lshl_u32 v1, v1, v5, 2
	s_delay_alu instid0(VALU_DEP_3)
	v_lshlrev_b32_e32 v2, 3, v2
	ds_bpermute_b32 v3, v1, v40
	v_add_lshl_u32 v2, v2, v5, 2
	s_waitcnt lgkmcnt(0)
	v_add_f32_e32 v4, v40, v3
	v_cndmask_b32_e64 v3, 0, 1, vcc_lo
	v_cmp_gt_u32_e32 vcc_lo, 30, v5
	ds_bpermute_b32 v6, v2, v4
	s_waitcnt lgkmcnt(0)
	v_dual_add_f32 v6, v4, v6 :: v_dual_lshlrev_b32 v3, 2, v3
	s_delay_alu instid0(VALU_DEP_1) | instskip(SKIP_4) | instid1(VALU_DEP_1)
	v_add_lshl_u32 v3, v3, v5, 2
	v_cndmask_b32_e64 v4, 0, 1, vcc_lo
	v_cmp_ne_u32_e32 vcc_lo, 31, v5
	ds_bpermute_b32 v7, v3, v6
	v_lshlrev_b32_e32 v4, 1, v4
	v_add_lshl_u32 v4, v4, v5, 2
	v_add_co_ci_u32_e32 v5, vcc_lo, 0, v5, vcc_lo
	s_waitcnt lgkmcnt(0)
	s_delay_alu instid0(VALU_DEP_1)
	v_dual_add_f32 v6, v6, v7 :: v_dual_lshlrev_b32 v5, 2, v5
	ds_bpermute_b32 v7, v4, v6
	s_waitcnt lgkmcnt(0)
	v_add_f32_e32 v8, v6, v7
	v_and_b32_e32 v6, 31, v0
	v_lshrrev_b32_e32 v7, 3, v0
	ds_bpermute_b32 v9, v5, v8
	v_cmp_eq_u32_e64 s1, 0, v6
	s_delay_alu instid0(VALU_DEP_1)
	s_and_saveexec_b32 s0, s1
	s_cbranch_execz .LBB32_57
; %bb.56:
	s_waitcnt lgkmcnt(0)
	v_add_f32_e32 v8, v8, v9
	ds_store_b32 v7, v8
.LBB32_57:
	s_or_b32 exec_lo, exec_lo, s0
	s_add_i32 s4, s4, 31
	v_lshlrev_b32_e32 v6, 2, v6
	s_lshr_b32 s0, s4, 5
	v_mov_b32_e32 v8, 0
	v_cmp_gt_u32_e64 s0, s0, v0
	s_waitcnt lgkmcnt(0)
	s_barrier
	buffer_gl0_inv
	s_and_saveexec_b32 s2, s0
	s_cbranch_execz .LBB32_59
; %bb.58:
	ds_load_b32 v8, v6
.LBB32_59:
	s_or_b32 exec_lo, exec_lo, s2
	v_cmp_gt_u32_e64 s2, 32, v0
	s_delay_alu instid0(VALU_DEP_1)
	s_and_saveexec_b32 s3, s2
	s_cbranch_execz .LBB32_61
; %bb.60:
	s_waitcnt lgkmcnt(0)
	ds_bpermute_b32 v9, v1, v8
	s_waitcnt lgkmcnt(0)
	v_add_f32_e32 v8, v8, v9
	ds_bpermute_b32 v9, v2, v8
	s_waitcnt lgkmcnt(0)
	v_add_f32_e32 v8, v8, v9
	;; [unrolled: 3-line block ×5, first 2 shown]
.LBB32_61:
	s_or_b32 exec_lo, exec_lo, s3
	v_cmp_eq_u32_e64 s3, 0, v0
	s_lshr_b32 s7, s10, 2
	s_cmp_lg_u32 s11, 0
	s_mov_b32 s5, 0
	s_cselect_b32 s6, -1, 0
	s_and_saveexec_b32 s10, s3
	s_cbranch_execz .LBB32_65
; %bb.62:
	s_add_i32 s4, s7, s13
	s_delay_alu instid0(SALU_CYCLE_1) | instskip(NEXT) | instid1(SALU_CYCLE_1)
	s_lshl_b64 s[4:5], s[4:5], 2
	s_add_u32 s4, s8, s4
	s_addc_u32 s5, s9, s5
	s_and_not1_b32 vcc_lo, exec_lo, s6
	s_cbranch_vccnz .LBB32_64
; %bb.63:
	s_load_b32 s11, s[4:5], 0x0
	s_waitcnt lgkmcnt(0)
	v_add_f32_e32 v8, s11, v8
.LBB32_64:
	v_mov_b32_e32 v0, 0
	s_waitcnt lgkmcnt(0)
	global_store_b32 v0, v8, s[4:5]
.LBB32_65:
	s_or_b32 exec_lo, exec_lo, s10
	ds_bpermute_b32 v0, v1, v23
	s_waitcnt lgkmcnt(0)
	s_waitcnt_vscnt null, 0x0
	s_barrier
	buffer_gl0_inv
	v_add_f32_e32 v0, v23, v0
	ds_bpermute_b32 v8, v2, v0
	s_waitcnt lgkmcnt(0)
	v_add_f32_e32 v0, v0, v8
	ds_bpermute_b32 v8, v3, v0
	s_waitcnt lgkmcnt(0)
	;; [unrolled: 3-line block ×3, first 2 shown]
	v_add_f32_e32 v0, v0, v8
	ds_bpermute_b32 v8, v5, v0
	s_and_saveexec_b32 s4, s1
	s_cbranch_execz .LBB32_67
; %bb.66:
	s_waitcnt lgkmcnt(0)
	v_add_f32_e32 v0, v0, v8
	ds_store_b32 v7, v0
.LBB32_67:
	s_or_b32 exec_lo, exec_lo, s4
	v_mov_b32_e32 v0, 0
	s_waitcnt lgkmcnt(0)
	s_barrier
	buffer_gl0_inv
	s_and_saveexec_b32 s1, s0
	s_cbranch_execnz .LBB32_70
; %bb.68:
	s_or_b32 exec_lo, exec_lo, s1
	s_and_saveexec_b32 s0, s2
	s_cbranch_execnz .LBB32_71
.LBB32_69:
	s_or_b32 exec_lo, exec_lo, s0
	s_and_saveexec_b32 s2, s3
	s_cbranch_execnz .LBB32_72
	s_branch .LBB32_76
.LBB32_70:
	ds_load_b32 v0, v6
	s_or_b32 exec_lo, exec_lo, s1
	s_and_saveexec_b32 s0, s2
	s_cbranch_execz .LBB32_69
.LBB32_71:
	s_waitcnt lgkmcnt(0)
	ds_bpermute_b32 v1, v1, v0
	s_waitcnt lgkmcnt(0)
	v_add_f32_e32 v0, v0, v1
	ds_bpermute_b32 v1, v2, v0
	s_waitcnt lgkmcnt(0)
	v_add_f32_e32 v0, v0, v1
	;; [unrolled: 3-line block ×5, first 2 shown]
	s_or_b32 exec_lo, exec_lo, s0
	s_and_saveexec_b32 s2, s3
	s_cbranch_execz .LBB32_76
.LBB32_72:
	s_or_b32 s0, s13, 1
	s_delay_alu instid0(SALU_CYCLE_1)
	s_cmp_ge_u32 s0, s12
	s_cbranch_scc1 .LBB32_76
; %bb.73:
	s_add_i32 s0, s7, s0
	s_mov_b32 s1, 0
	s_delay_alu instid0(SALU_CYCLE_1) | instskip(NEXT) | instid1(SALU_CYCLE_1)
	s_lshl_b64 s[0:1], s[0:1], 2
	s_add_u32 s0, s8, s0
	s_addc_u32 s1, s9, s1
	s_and_not1_b32 vcc_lo, exec_lo, s6
	s_cbranch_vccnz .LBB32_75
; %bb.74:
	v_mov_b32_e32 v1, 0
	global_load_b32 v1, v1, s[0:1]
	s_waitcnt vmcnt(0) lgkmcnt(0)
	v_add_f32_e32 v0, v0, v1
.LBB32_75:
	v_mov_b32_e32 v1, 0
	s_waitcnt lgkmcnt(0)
	global_store_b32 v1, v0, s[0:1]
.LBB32_76:
	s_or_b32 exec_lo, exec_lo, s2
	s_waitcnt lgkmcnt(0)
	s_waitcnt_vscnt null, 0x0
	s_barrier
	buffer_gl0_inv
.LBB32_77:
	s_endpgm
	.section	.rodata,"a",@progbits
	.p2align	6, 0x0
	.amdhsa_kernel dmmv_q5k_mr2
		.amdhsa_group_segment_fixed_size 128
		.amdhsa_private_segment_fixed_size 0
		.amdhsa_kernarg_size 304
		.amdhsa_user_sgpr_count 15
		.amdhsa_user_sgpr_dispatch_ptr 0
		.amdhsa_user_sgpr_queue_ptr 0
		.amdhsa_user_sgpr_kernarg_segment_ptr 1
		.amdhsa_user_sgpr_dispatch_id 0
		.amdhsa_user_sgpr_private_segment_size 0
		.amdhsa_wavefront_size32 1
		.amdhsa_uses_dynamic_stack 0
		.amdhsa_enable_private_segment 0
		.amdhsa_system_sgpr_workgroup_id_x 1
		.amdhsa_system_sgpr_workgroup_id_y 0
		.amdhsa_system_sgpr_workgroup_id_z 0
		.amdhsa_system_sgpr_workgroup_info 0
		.amdhsa_system_vgpr_workitem_id 0
		.amdhsa_next_free_vgpr 92
		.amdhsa_next_free_sgpr 24
		.amdhsa_reserve_vcc 1
		.amdhsa_float_round_mode_32 0
		.amdhsa_float_round_mode_16_64 0
		.amdhsa_float_denorm_mode_32 3
		.amdhsa_float_denorm_mode_16_64 3
		.amdhsa_dx10_clamp 1
		.amdhsa_ieee_mode 1
		.amdhsa_fp16_overflow 0
		.amdhsa_workgroup_processor_mode 1
		.amdhsa_memory_ordered 1
		.amdhsa_forward_progress 0
		.amdhsa_shared_vgpr_count 0
		.amdhsa_exception_fp_ieee_invalid_op 0
		.amdhsa_exception_fp_denorm_src 0
		.amdhsa_exception_fp_ieee_div_zero 0
		.amdhsa_exception_fp_ieee_overflow 0
		.amdhsa_exception_fp_ieee_underflow 0
		.amdhsa_exception_fp_ieee_inexact 0
		.amdhsa_exception_int_div_zero 0
	.end_amdhsa_kernel
	.text
.Lfunc_end32:
	.size	dmmv_q5k_mr2, .Lfunc_end32-dmmv_q5k_mr2
                                        ; -- End function
	.section	.AMDGPU.csdata,"",@progbits
; Kernel info:
; codeLenInByte = 4780
; NumSgprs: 26
; NumVgprs: 92
; ScratchSize: 0
; MemoryBound: 0
; FloatMode: 240
; IeeeMode: 1
; LDSByteSize: 128 bytes/workgroup (compile time only)
; SGPRBlocks: 3
; VGPRBlocks: 11
; NumSGPRsForWavesPerEU: 26
; NumVGPRsForWavesPerEU: 92
; Occupancy: 16
; WaveLimiterHint : 1
; COMPUTE_PGM_RSRC2:SCRATCH_EN: 0
; COMPUTE_PGM_RSRC2:USER_SGPR: 15
; COMPUTE_PGM_RSRC2:TRAP_HANDLER: 0
; COMPUTE_PGM_RSRC2:TGID_X_EN: 1
; COMPUTE_PGM_RSRC2:TGID_Y_EN: 0
; COMPUTE_PGM_RSRC2:TGID_Z_EN: 0
; COMPUTE_PGM_RSRC2:TIDIG_COMP_CNT: 0
	.text
	.protected	gemm_q4k_tiled          ; -- Begin function gemm_q4k_tiled
	.globl	gemm_q4k_tiled
	.p2align	8
	.type	gemm_q4k_tiled,@function
gemm_q4k_tiled:                         ; @gemm_q4k_tiled
; %bb.0:
	s_clause 0x2
	s_load_b128 s[36:39], s[0:1], 0x18
	s_load_b128 s[40:43], s[0:1], 0x0
	s_load_b64 s[44:45], s[0:1], 0x10
	v_lshrrev_b32_e32 v1, 5, v0
	s_lshl_b32 s2, s14, 3
	v_and_b32_e32 v66, 31, v0
	s_lshl_b32 s47, s15, 5
	s_delay_alu instid0(VALU_DEP_2)
	v_add_nc_u32_e32 v68, s2, v1
	s_waitcnt lgkmcnt(0)
	s_cmpk_gt_u32 s37, 0xff
	s_cbranch_scc0 .LBB33_96
; %bb.1:
	s_load_b32 s3, s[0:1], 0x28
	v_lshrrev_b32_e32 v3, 8, v0
	v_dual_mov_b32 v69, 0 :: v_dual_and_b32 v0, 0xff, v0
	s_lshr_b32 s48, s37, 8
	s_lshr_b32 s46, s39, 2
	s_delay_alu instid0(VALU_DEP_2)
	v_add_nc_u32_e32 v60, s47, v3
	v_lshlrev_b32_e32 v5, 2, v3
	v_lshlrev_b32_e32 v4, 2, v0
	v_or_b32_e32 v56, s47, v3
	v_lshl_add_u32 v2, v66, 3, v1
	v_add_nc_u32_e32 v75, 31, v60
	v_add_nc_u32_e32 v6, 1, v60
	v_lshl_or_b32 v74, v0, 7, v5
	v_add_nc_u32_e32 v0, 2, v60
	v_add_nc_u32_e32 v10, 3, v60
	v_cmp_gt_u32_e64 s34, s38, v75
	v_mad_u64_u32 v[64:65], null, v75, s37, 0
	v_mov_b32_e32 v75, 0
	s_waitcnt lgkmcnt(0)
	s_and_b32 s3, s3, -4
	v_cmp_gt_u32_e64 s5, s38, v10
	s_add_u32 s3, s42, s3
	s_addc_u32 s4, s43, 0
	v_add_co_u32 v72, s3, s3, v4
	s_delay_alu instid0(VALU_DEP_1)
	v_add_co_ci_u32_e64 v73, null, s4, 0, s3
	v_cmp_gt_u32_e64 s3, s38, v6
	v_mad_u64_u32 v[4:5], null, v6, s37, 0
	v_cmp_gt_u32_e64 s4, s38, v0
	v_mad_u64_u32 v[6:7], null, v0, s37, 0
	v_or_b32_e32 v0, 4, v56
	v_mad_u64_u32 v[8:9], null, v10, s37, 0
	v_add_nc_u32_e32 v14, 5, v60
	v_add_nc_u32_e32 v18, 7, v60
	s_delay_alu instid0(VALU_DEP_4)
	v_cmp_gt_u32_e64 s6, s38, v0
	v_mad_u64_u32 v[10:11], null, v0, s37, 0
	v_add_nc_u32_e32 v0, 6, v60
	v_cmp_gt_u32_e64 s7, s38, v14
	v_mad_u64_u32 v[12:13], null, v14, s37, 0
	v_cmp_gt_u32_e64 s9, s38, v18
	s_delay_alu instid0(VALU_DEP_4)
	v_cmp_gt_u32_e64 s8, s38, v0
	v_mad_u64_u32 v[14:15], null, v0, s37, 0
	v_or_b32_e32 v0, 8, v56
	v_mad_u64_u32 v[16:17], null, v18, s37, 0
	v_add_nc_u32_e32 v22, 9, v60
	v_add_nc_u32_e32 v26, 11, v60
	s_delay_alu instid0(VALU_DEP_4)
	v_cmp_gt_u32_e64 s10, s38, v0
	v_mad_u64_u32 v[18:19], null, v0, s37, 0
	v_add_nc_u32_e32 v0, 10, v60
	v_cmp_gt_u32_e64 s11, s38, v22
	v_mad_u64_u32 v[20:21], null, v22, s37, 0
	v_cmp_gt_u32_e64 s13, s38, v26
	s_delay_alu instid0(VALU_DEP_4)
	;; [unrolled: 14-line block ×5, first 2 shown]
	v_cmp_gt_u32_e64 s24, s38, v0
	v_mad_u64_u32 v[46:47], null, v0, s37, 0
	v_or_b32_e32 v0, 24, v56
	v_mad_u64_u32 v[48:49], null, v50, s37, 0
	v_add_nc_u32_e32 v54, 25, v60
	v_add_nc_u32_e32 v58, 27, v60
	s_delay_alu instid0(VALU_DEP_4)
	v_cmp_gt_u32_e64 s26, s38, v0
	v_mad_u64_u32 v[50:51], null, v0, s37, 0
	v_add_nc_u32_e32 v0, 26, v60
	v_cmp_gt_u32_e64 s27, s38, v54
	v_mad_u64_u32 v[52:53], null, v54, s37, 0
	v_add_nc_u32_e32 v67, s2, v1
	s_delay_alu instid0(VALU_DEP_4)
	v_cmp_gt_u32_e64 s28, s38, v0
	v_mad_u64_u32 v[54:55], null, v0, s37, 0
	v_or_b32_e32 v0, 28, v56
	v_lshl_or_b32 v71, v2, 2, 0x8000
	v_cmp_gt_u32_e64 s2, s38, v56
	v_mad_u64_u32 v[2:3], null, v56, s37, 0
	v_cmp_gt_u32_e64 s29, s38, v58
	v_mad_u64_u32 v[56:57], null, v58, s37, 0
	v_add_nc_u32_e32 v62, 29, v60
	v_cmp_gt_u32_e64 s30, s38, v0
	v_mad_u64_u32 v[58:59], null, v0, s37, 0
	v_add_nc_u32_e32 v0, 30, v60
	s_delay_alu instid0(VALU_DEP_4) | instskip(SKIP_2) | instid1(VALU_DEP_4)
	v_cmp_gt_u32_e64 s31, s38, v62
	v_mad_u64_u32 v[60:61], null, v62, s37, 0
	v_mul_lo_u32 v70, s48, v67
	v_mad_u64_u32 v[62:63], null, v0, s37, 0
	v_cmp_gt_u32_e64 s33, s38, v0
	v_lshl_or_b32 v76, v1, 2, 0x8000
	v_lshlrev_b64 v[0:1], 2, v[2:3]
	v_lshlrev_b64 v[2:3], 2, v[4:5]
	;; [unrolled: 1-line block ×32, first 2 shown]
	v_cmp_le_u32_e32 vcc_lo, s36, v67
	v_lshlrev_b32_e32 v77, 2, v66
	s_mov_b32 s43, 0
	s_mov_b32 s37, 0
.LBB33_2:                               ; =>This Loop Header: Depth=1
                                        ;     Child Loop BB33_93 Depth 2
	s_and_saveexec_b32 s35, vcc_lo
	s_delay_alu instid0(SALU_CYCLE_1)
	s_xor_b32 s35, exec_lo, s35
	s_cbranch_execz .LBB33_4
; %bb.3:                                ;   in Loop: Header=BB33_2 Depth=1
	ds_store_2addr_stride64_b32 v71, v69, v69 offset1:4
	ds_store_2addr_stride64_b32 v71, v69, v69 offset0:8 offset1:12
	ds_store_2addr_stride64_b32 v71, v69, v69 offset0:16 offset1:20
	ds_store_2addr_stride64_b32 v71, v69, v69 offset0:24 offset1:28
.LBB33_4:                               ;   in Loop: Header=BB33_2 Depth=1
	s_and_not1_saveexec_b32 s39, s35
	s_cbranch_execz .LBB33_28
; %bb.5:                                ;   in Loop: Header=BB33_2 Depth=1
	v_add_nc_u32_e32 v78, s37, v70
	s_delay_alu instid0(VALU_DEP_1) | instskip(SKIP_1) | instid1(VALU_DEP_1)
	v_mad_u64_u32 v[64:65], null, v78, 36, s[46:47]
	v_mov_b32_e32 v65, v69
	v_lshlrev_b64 v[64:65], 2, v[64:65]
	s_delay_alu instid0(VALU_DEP_1) | instskip(NEXT) | instid1(VALU_DEP_1)
	v_add_co_u32 v64, s35, s40, v64
	v_add_co_ci_u32_e64 v65, s35, s41, v65, s35
	global_load_b32 v80, v[64:65], off
	s_waitcnt vmcnt(0)
	v_bfe_u32 v81, v80, 10, 5
	v_bfe_u32 v79, v80, 15, 1
	s_delay_alu instid0(VALU_DEP_2) | instskip(NEXT) | instid1(VALU_DEP_2)
	v_cmp_lt_i32_e64 s35, 30, v81
	v_lshlrev_b32_e32 v78, 31, v79
	s_delay_alu instid0(VALU_DEP_2) | instskip(NEXT) | instid1(SALU_CYCLE_1)
	s_and_saveexec_b32 s42, s35
	s_xor_b32 s35, exec_lo, s42
; %bb.6:                                ;   in Loop: Header=BB33_2 Depth=1
	v_and_b32_e32 v78, 0xffff, v80
	v_lshlrev_b32_e32 v79, 31, v79
                                        ; implicit-def: $vgpr81
	s_delay_alu instid0(VALU_DEP_2) | instskip(NEXT) | instid1(VALU_DEP_1)
	v_lshlrev_b32_e32 v78, 13, v78
	v_or3_b32 v78, v79, v78, 0x7f800000
                                        ; implicit-def: $vgpr79
; %bb.7:                                ;   in Loop: Header=BB33_2 Depth=1
	s_and_not1_saveexec_b32 s42, s35
	s_cbranch_execz .LBB33_15
; %bb.8:                                ;   in Loop: Header=BB33_2 Depth=1
	v_and_b32_e32 v82, 0x3ff, v80
	v_cmp_ne_u32_e64 s35, 0, v81
	s_delay_alu instid0(VALU_DEP_1) | instskip(NEXT) | instid1(SALU_CYCLE_1)
	s_and_saveexec_b32 s49, s35
	s_xor_b32 s35, exec_lo, s49
; %bb.9:                                ;   in Loop: Header=BB33_2 Depth=1
	v_lshlrev_b32_e32 v78, 31, v79
	v_lshlrev_b32_e32 v79, 23, v81
	;; [unrolled: 1-line block ×3, first 2 shown]
                                        ; implicit-def: $vgpr82
	s_delay_alu instid0(VALU_DEP_1) | instskip(NEXT) | instid1(VALU_DEP_1)
	v_or3_b32 v78, v79, v78, v81
                                        ; implicit-def: $vgpr79
	v_add_nc_u32_e32 v78, 0x38000000, v78
; %bb.10:                               ;   in Loop: Header=BB33_2 Depth=1
	s_and_not1_saveexec_b32 s49, s35
	s_cbranch_execz .LBB33_14
; %bb.11:                               ;   in Loop: Header=BB33_2 Depth=1
	v_cmp_ne_u32_e64 s35, 0, v82
	s_delay_alu instid0(VALU_DEP_1) | instskip(NEXT) | instid1(SALU_CYCLE_1)
	s_and_saveexec_b32 s50, s35
	s_xor_b32 s35, exec_lo, s50
; %bb.12:                               ;   in Loop: Header=BB33_2 Depth=1
	v_clz_i32_u32_e32 v78, v82
	v_lshlrev_b32_e32 v79, 31, v79
	s_delay_alu instid0(VALU_DEP_2) | instskip(SKIP_1) | instid1(VALU_DEP_2)
	v_xor_b32_e32 v81, 31, v78
	v_lshlrev_b32_e32 v78, 23, v78
	v_sub_nc_u32_e32 v81, 9, v81
	s_delay_alu instid0(VALU_DEP_1) | instskip(NEXT) | instid1(VALU_DEP_1)
	v_lshlrev_b32_e32 v81, v81, v80
	v_lshlrev_b32_e32 v81, 14, v81
	s_delay_alu instid0(VALU_DEP_1) | instskip(NEXT) | instid1(VALU_DEP_1)
	v_and_or_b32 v79, 0x7fc000, v81, v79
	v_sub_nc_u32_e32 v78, v79, v78
	s_delay_alu instid0(VALU_DEP_1)
	v_add_nc_u32_e32 v78, 0x43000000, v78
; %bb.13:                               ;   in Loop: Header=BB33_2 Depth=1
	s_and_not1_saveexec_b32 s35, s35
	s_delay_alu instid0(SALU_CYCLE_1)
	s_or_b32 exec_lo, exec_lo, s35
.LBB33_14:                              ;   in Loop: Header=BB33_2 Depth=1
	s_delay_alu instid0(SALU_CYCLE_1)
	s_or_b32 exec_lo, exec_lo, s49
.LBB33_15:                              ;   in Loop: Header=BB33_2 Depth=1
	s_delay_alu instid0(SALU_CYCLE_1) | instskip(SKIP_2) | instid1(VALU_DEP_2)
	s_or_b32 exec_lo, exec_lo, s42
	v_bfe_u32 v82, v80, 26, 5
	v_lshrrev_b32_e32 v81, 16, v80
                                        ; implicit-def: $vgpr79
	v_cmp_lt_i32_e64 s35, 30, v82
	s_delay_alu instid0(VALU_DEP_1) | instskip(NEXT) | instid1(SALU_CYCLE_1)
	s_and_saveexec_b32 s42, s35
	s_xor_b32 s35, exec_lo, s42
; %bb.16:                               ;   in Loop: Header=BB33_2 Depth=1
	v_and_b32_e32 v79, 0x80000000, v80
	v_lshlrev_b32_e32 v80, 13, v81
                                        ; implicit-def: $vgpr81
                                        ; implicit-def: $vgpr82
	s_delay_alu instid0(VALU_DEP_1)
	v_or3_b32 v79, v80, v79, 0x7f800000
                                        ; implicit-def: $vgpr80
; %bb.17:                               ;   in Loop: Header=BB33_2 Depth=1
	s_and_not1_saveexec_b32 s42, s35
	s_cbranch_execz .LBB33_27
; %bb.18:                               ;   in Loop: Header=BB33_2 Depth=1
	v_and_b32_e32 v83, 0x3ff, v81
	v_cmp_ne_u32_e64 s35, 0, v82
                                        ; implicit-def: $vgpr79
	s_delay_alu instid0(VALU_DEP_1) | instskip(NEXT) | instid1(SALU_CYCLE_1)
	s_and_saveexec_b32 s49, s35
	s_xor_b32 s35, exec_lo, s49
; %bb.19:                               ;   in Loop: Header=BB33_2 Depth=1
	v_and_b32_e32 v79, 0x80000000, v80
	v_lshlrev_b32_e32 v80, 23, v82
	v_lshlrev_b32_e32 v81, 13, v83
                                        ; implicit-def: $vgpr83
	s_delay_alu instid0(VALU_DEP_1) | instskip(NEXT) | instid1(VALU_DEP_1)
	v_or3_b32 v79, v80, v79, v81
                                        ; implicit-def: $vgpr80
                                        ; implicit-def: $vgpr81
	v_add_nc_u32_e32 v79, 0x38000000, v79
; %bb.20:                               ;   in Loop: Header=BB33_2 Depth=1
	s_and_not1_saveexec_b32 s49, s35
	s_cbranch_execz .LBB33_26
; %bb.21:                               ;   in Loop: Header=BB33_2 Depth=1
	v_cmp_ne_u32_e64 s35, 0, v83
                                        ; implicit-def: $vgpr79
	s_delay_alu instid0(VALU_DEP_1) | instskip(NEXT) | instid1(SALU_CYCLE_1)
	s_and_saveexec_b32 s50, s35
	s_xor_b32 s35, exec_lo, s50
; %bb.22:                               ;   in Loop: Header=BB33_2 Depth=1
	v_clz_i32_u32_e32 v79, v83
	s_delay_alu instid0(VALU_DEP_1) | instskip(SKIP_1) | instid1(VALU_DEP_2)
	v_xor_b32_e32 v82, 31, v79
	v_lshlrev_b32_e32 v79, 23, v79
	v_sub_nc_u32_e32 v82, 9, v82
	s_delay_alu instid0(VALU_DEP_1) | instskip(NEXT) | instid1(VALU_DEP_1)
	v_lshlrev_b32_e32 v81, v82, v81
	v_lshlrev_b32_e32 v81, 14, v81
	s_delay_alu instid0(VALU_DEP_1) | instskip(NEXT) | instid1(VALU_DEP_1)
	v_and_b32_e32 v81, 0x7fc000, v81
	v_and_or_b32 v80, 0x80000000, v80, v81
	s_delay_alu instid0(VALU_DEP_1) | instskip(NEXT) | instid1(VALU_DEP_1)
	v_sub_nc_u32_e32 v79, v80, v79
                                        ; implicit-def: $vgpr80
	v_add_nc_u32_e32 v79, 0x43000000, v79
; %bb.23:                               ;   in Loop: Header=BB33_2 Depth=1
	s_and_not1_saveexec_b32 s35, s35
; %bb.24:                               ;   in Loop: Header=BB33_2 Depth=1
	v_and_b32_e32 v79, 0x80000000, v80
; %bb.25:                               ;   in Loop: Header=BB33_2 Depth=1
	s_or_b32 exec_lo, exec_lo, s35
.LBB33_26:                              ;   in Loop: Header=BB33_2 Depth=1
	s_delay_alu instid0(SALU_CYCLE_1)
	s_or_b32 exec_lo, exec_lo, s49
.LBB33_27:                              ;   in Loop: Header=BB33_2 Depth=1
	s_delay_alu instid0(SALU_CYCLE_1) | instskip(SKIP_2) | instid1(VALU_DEP_1)
	s_or_b32 exec_lo, exec_lo, s42
	global_load_b96 v[80:82], v[64:65], off offset:4
	v_add_co_u32 v64, s35, v64, v66
	v_add_co_ci_u32_e64 v65, s35, 0, v65, s35
	global_load_u8 v88, v[64:65], off offset:16
	s_waitcnt vmcnt(1)
	v_and_b32_e32 v91, 63, v81
	v_lshrrev_b32_e32 v84, 8, v81
	v_lshrrev_b32_e32 v83, 8, v80
	v_lshrrev_b32_e32 v85, 8, v82
	v_lshrrev_b32_e32 v86, 16, v82
	v_cvt_f32_ubyte0_e32 v91, v91
	v_and_b32_e32 v90, 63, v80
	v_lshrrev_b16 v84, 2, v84
	v_lshrrev_b16 v83, 2, v83
	v_lshrrev_b32_e32 v87, 24, v82
	v_mul_f32_e32 v91, v79, v91
	v_cvt_f32_ubyte0_e32 v90, v90
	s_waitcnt vmcnt(0)
	v_and_b32_e32 v89, 15, v88
	v_lshrrev_b32_e32 v88, 4, v88
	v_and_b32_e32 v83, 48, v83
	v_and_b32_e32 v84, 48, v84
	v_mul_f32_e32 v90, v78, v90
	v_cvt_f32_ubyte0_e32 v89, v89
	v_cvt_f32_ubyte0_e32 v88, v88
	s_delay_alu instid0(VALU_DEP_2) | instskip(SKIP_2) | instid1(VALU_DEP_2)
	v_fma_f32 v89, v90, v89, -v91
	v_bfe_u32 v90, v80, 8, 6
	v_bfe_u32 v91, v81, 8, 6
	v_cvt_f32_ubyte0_e32 v90, v90
	s_delay_alu instid0(VALU_DEP_2) | instskip(NEXT) | instid1(VALU_DEP_1)
	v_cvt_f32_ubyte0_e32 v91, v91
	v_dual_mul_f32 v90, v78, v90 :: v_dual_mul_f32 v91, v79, v91
	s_delay_alu instid0(VALU_DEP_1)
	v_fma_f32 v88, v90, v88, -v91
	v_bfe_u32 v90, v80, 16, 6
	v_bfe_u32 v91, v81, 16, 6
	ds_store_2addr_stride64_b32 v71, v89, v88 offset1:4
	global_load_u8 v88, v[64:65], off offset:48
	v_cvt_f32_ubyte0_e32 v90, v90
	v_cvt_f32_ubyte0_e32 v91, v91
	s_delay_alu instid0(VALU_DEP_1) | instskip(SKIP_3) | instid1(VALU_DEP_2)
	v_dual_mul_f32 v90, v78, v90 :: v_dual_mul_f32 v91, v79, v91
	s_waitcnt vmcnt(0)
	v_and_b32_e32 v89, 15, v88
	v_lshrrev_b32_e32 v88, 4, v88
	v_cvt_f32_ubyte0_e32 v89, v89
	s_delay_alu instid0(VALU_DEP_2) | instskip(NEXT) | instid1(VALU_DEP_2)
	v_cvt_f32_ubyte0_e32 v88, v88
	v_fma_f32 v89, v90, v89, -v91
	v_bfe_u32 v90, v80, 24, 6
	v_bfe_u32 v91, v81, 24, 6
	s_delay_alu instid0(VALU_DEP_2) | instskip(NEXT) | instid1(VALU_DEP_2)
	v_cvt_f32_ubyte0_e32 v90, v90
	v_cvt_f32_ubyte0_e32 v91, v91
	s_delay_alu instid0(VALU_DEP_1) | instskip(NEXT) | instid1(VALU_DEP_1)
	v_dual_mul_f32 v90, v78, v90 :: v_dual_mul_f32 v91, v79, v91
	v_fma_f32 v88, v90, v88, -v91
	v_and_b32_e32 v90, 15, v82
	ds_store_2addr_stride64_b32 v71, v89, v88 offset0:8 offset1:12
	v_lshrrev_b16 v88, 2, v81
	v_lshrrev_b16 v89, 4, v82
	s_delay_alu instid0(VALU_DEP_2) | instskip(NEXT) | instid1(VALU_DEP_2)
	v_and_b32_e32 v88, 48, v88
	v_and_b32_e32 v89, 15, v89
	s_delay_alu instid0(VALU_DEP_1) | instskip(SKIP_1) | instid1(VALU_DEP_2)
	v_or_b32_e32 v88, v88, v89
	v_lshrrev_b16 v89, 2, v80
	v_cvt_f32_ubyte0_e32 v88, v88
	s_delay_alu instid0(VALU_DEP_1) | instskip(NEXT) | instid1(VALU_DEP_1)
	v_dual_mul_f32 v88, v79, v88 :: v_dual_and_b32 v89, 48, v89
	v_or_b32_e32 v89, v89, v90
	s_clause 0x1
	global_load_u8 v90, v[64:65], off offset:80
	global_load_u8 v64, v[64:65], off offset:112
	v_cvt_f32_ubyte0_e32 v89, v89
	s_delay_alu instid0(VALU_DEP_1)
	v_mul_f32_e32 v89, v78, v89
	s_waitcnt vmcnt(1)
	v_and_b32_e32 v91, 15, v90
	s_waitcnt vmcnt(0)
	v_and_b32_e32 v65, 15, v64
	v_lshrrev_b32_e32 v64, 4, v64
	s_delay_alu instid0(VALU_DEP_3) | instskip(NEXT) | instid1(VALU_DEP_3)
	v_cvt_f32_ubyte0_e32 v91, v91
	v_cvt_f32_ubyte0_e32 v65, v65
	s_delay_alu instid0(VALU_DEP_3) | instskip(NEXT) | instid1(VALU_DEP_3)
	v_cvt_f32_ubyte0_e32 v64, v64
	v_fma_f32 v88, v89, v91, -v88
	v_lshrrev_b16 v89, 4, v85
	v_and_b32_e32 v85, 15, v85
	s_delay_alu instid0(VALU_DEP_2) | instskip(NEXT) | instid1(VALU_DEP_2)
	v_and_b32_e32 v89, 15, v89
	v_or_b32_e32 v83, v83, v85
	v_lshrrev_b32_e32 v85, 4, v90
	s_delay_alu instid0(VALU_DEP_3) | instskip(NEXT) | instid1(VALU_DEP_3)
	v_or_b32_e32 v84, v84, v89
	v_cvt_f32_ubyte0_e32 v83, v83
	s_delay_alu instid0(VALU_DEP_3) | instskip(NEXT) | instid1(VALU_DEP_3)
	v_cvt_f32_ubyte0_e32 v85, v85
	v_cvt_f32_ubyte0_e32 v84, v84
	s_delay_alu instid0(VALU_DEP_1) | instskip(NEXT) | instid1(VALU_DEP_1)
	v_dual_mul_f32 v83, v78, v83 :: v_dual_mul_f32 v84, v79, v84
	v_fma_f32 v83, v83, v85, -v84
	v_lshrrev_b32_e32 v84, 20, v82
	v_lshrrev_b32_e32 v82, 28, v82
	v_and_b32_e32 v85, 15, v86
	ds_store_2addr_stride64_b32 v71, v88, v83 offset0:16 offset1:20
	v_and_b32_e32 v84, 15, v84
	v_lshrrev_b32_e32 v83, 18, v81
	v_lshrrev_b32_e32 v81, 26, v81
	s_delay_alu instid0(VALU_DEP_2) | instskip(NEXT) | instid1(VALU_DEP_2)
	v_and_b32_e32 v83, 48, v83
	v_and_b32_e32 v81, 48, v81
	s_delay_alu instid0(VALU_DEP_2) | instskip(SKIP_2) | instid1(VALU_DEP_4)
	v_or_b32_e32 v83, v83, v84
	v_lshrrev_b32_e32 v84, 18, v80
	v_lshrrev_b32_e32 v80, 26, v80
	v_or_b32_e32 v81, v81, v82
	v_and_b32_e32 v82, 15, v87
	v_cvt_f32_ubyte0_e32 v83, v83
	v_and_b32_e32 v84, 48, v84
	s_delay_alu instid0(VALU_DEP_2) | instskip(NEXT) | instid1(VALU_DEP_2)
	v_dual_mul_f32 v83, v79, v83 :: v_dual_and_b32 v80, 48, v80
	v_or_b32_e32 v84, v84, v85
	s_delay_alu instid0(VALU_DEP_2) | instskip(NEXT) | instid1(VALU_DEP_2)
	v_or_b32_e32 v80, v80, v82
	v_cvt_f32_ubyte0_e32 v84, v84
	s_delay_alu instid0(VALU_DEP_2) | instskip(NEXT) | instid1(VALU_DEP_2)
	v_cvt_f32_ubyte0_e32 v80, v80
	v_mul_f32_e32 v84, v78, v84
	s_delay_alu instid0(VALU_DEP_2) | instskip(SKIP_1) | instid1(VALU_DEP_3)
	v_mul_f32_e32 v78, v78, v80
	v_cvt_f32_ubyte0_e32 v80, v81
	v_fma_f32 v65, v84, v65, -v83
	s_delay_alu instid0(VALU_DEP_2) | instskip(NEXT) | instid1(VALU_DEP_1)
	v_mul_f32_e32 v79, v79, v80
	v_fma_f32 v64, v78, v64, -v79
	ds_store_2addr_stride64_b32 v71, v65, v64 offset0:24 offset1:28
.LBB33_28:                              ;   in Loop: Header=BB33_2 Depth=1
	s_or_b32 exec_lo, exec_lo, s39
	s_lshl_b32 s42, s37, 8
	v_dual_mov_b32 v79, 0 :: v_dual_mov_b32 v78, 0
	s_lshl_b64 s[50:51], s[42:43], 2
	s_delay_alu instid0(SALU_CYCLE_1) | instskip(NEXT) | instid1(VALU_DEP_1)
	v_add_co_u32 v64, s35, v72, s50
	v_add_co_ci_u32_e64 v65, s35, s51, v73, s35
	s_and_saveexec_b32 s39, s2
	s_cbranch_execz .LBB33_30
; %bb.29:                               ;   in Loop: Header=BB33_2 Depth=1
	s_delay_alu instid0(VALU_DEP_2) | instskip(NEXT) | instid1(VALU_DEP_1)
	v_add_co_u32 v80, s35, v64, v0
	v_add_co_ci_u32_e64 v81, s35, v65, v1, s35
	global_load_b32 v78, v[80:81], off
.LBB33_30:                              ;   in Loop: Header=BB33_2 Depth=1
	s_or_b32 exec_lo, exec_lo, s39
	s_waitcnt vmcnt(0)
	ds_store_b32 v74, v78
	s_and_saveexec_b32 s39, s3
	s_cbranch_execz .LBB33_32
; %bb.31:                               ;   in Loop: Header=BB33_2 Depth=1
	v_add_co_u32 v78, s35, v64, v2
	s_delay_alu instid0(VALU_DEP_1)
	v_add_co_ci_u32_e64 v79, s35, v65, v3, s35
	global_load_b32 v79, v[78:79], off
.LBB33_32:                              ;   in Loop: Header=BB33_2 Depth=1
	s_or_b32 exec_lo, exec_lo, s39
	v_mov_b32_e32 v78, 0
	v_mov_b32_e32 v80, 0
	s_waitcnt vmcnt(0)
	ds_store_b32 v74, v79 offset:4
	s_and_saveexec_b32 s39, s4
	s_cbranch_execz .LBB33_34
; %bb.33:                               ;   in Loop: Header=BB33_2 Depth=1
	v_add_co_u32 v79, s35, v64, v4
	s_delay_alu instid0(VALU_DEP_1)
	v_add_co_ci_u32_e64 v80, s35, v65, v5, s35
	global_load_b32 v80, v[79:80], off
.LBB33_34:                              ;   in Loop: Header=BB33_2 Depth=1
	s_or_b32 exec_lo, exec_lo, s39
	s_waitcnt vmcnt(0)
	ds_store_b32 v74, v80 offset:8
	s_and_saveexec_b32 s39, s5
	s_cbranch_execz .LBB33_36
; %bb.35:                               ;   in Loop: Header=BB33_2 Depth=1
	v_add_co_u32 v78, s35, v64, v6
	s_delay_alu instid0(VALU_DEP_1)
	v_add_co_ci_u32_e64 v79, s35, v65, v7, s35
	global_load_b32 v78, v[78:79], off
.LBB33_36:                              ;   in Loop: Header=BB33_2 Depth=1
	s_or_b32 exec_lo, exec_lo, s39
	v_dual_mov_b32 v79, 0 :: v_dual_mov_b32 v80, 0
	s_waitcnt vmcnt(0)
	ds_store_b32 v74, v78 offset:12
	s_and_saveexec_b32 s39, s6
	s_cbranch_execz .LBB33_38
; %bb.37:                               ;   in Loop: Header=BB33_2 Depth=1
	v_add_co_u32 v80, s35, v64, v8
	s_delay_alu instid0(VALU_DEP_1)
	v_add_co_ci_u32_e64 v81, s35, v65, v9, s35
	global_load_b32 v80, v[80:81], off
.LBB33_38:                              ;   in Loop: Header=BB33_2 Depth=1
	s_or_b32 exec_lo, exec_lo, s39
	s_waitcnt vmcnt(0)
	ds_store_b32 v74, v80 offset:16
	s_and_saveexec_b32 s39, s7
	s_cbranch_execz .LBB33_40
; %bb.39:                               ;   in Loop: Header=BB33_2 Depth=1
	v_add_co_u32 v78, s35, v64, v10
	s_delay_alu instid0(VALU_DEP_1)
	v_add_co_ci_u32_e64 v79, s35, v65, v11, s35
	global_load_b32 v79, v[78:79], off
.LBB33_40:                              ;   in Loop: Header=BB33_2 Depth=1
	s_or_b32 exec_lo, exec_lo, s39
	v_mov_b32_e32 v78, 0
	v_mov_b32_e32 v80, 0
	s_waitcnt vmcnt(0)
	ds_store_b32 v74, v79 offset:20
	s_and_saveexec_b32 s39, s8
	s_cbranch_execz .LBB33_42
; %bb.41:                               ;   in Loop: Header=BB33_2 Depth=1
	v_add_co_u32 v79, s35, v64, v12
	s_delay_alu instid0(VALU_DEP_1)
	v_add_co_ci_u32_e64 v80, s35, v65, v13, s35
	global_load_b32 v80, v[79:80], off
.LBB33_42:                              ;   in Loop: Header=BB33_2 Depth=1
	s_or_b32 exec_lo, exec_lo, s39
	s_waitcnt vmcnt(0)
	ds_store_b32 v74, v80 offset:24
	s_and_saveexec_b32 s39, s9
	s_cbranch_execz .LBB33_44
; %bb.43:                               ;   in Loop: Header=BB33_2 Depth=1
	v_add_co_u32 v78, s35, v64, v14
	s_delay_alu instid0(VALU_DEP_1)
	v_add_co_ci_u32_e64 v79, s35, v65, v15, s35
	global_load_b32 v78, v[78:79], off
.LBB33_44:                              ;   in Loop: Header=BB33_2 Depth=1
	s_or_b32 exec_lo, exec_lo, s39
	v_dual_mov_b32 v79, 0 :: v_dual_mov_b32 v80, 0
	s_waitcnt vmcnt(0)
	ds_store_b32 v74, v78 offset:28
	s_and_saveexec_b32 s39, s10
	s_cbranch_execz .LBB33_46
; %bb.45:                               ;   in Loop: Header=BB33_2 Depth=1
	v_add_co_u32 v80, s35, v64, v16
	s_delay_alu instid0(VALU_DEP_1)
	v_add_co_ci_u32_e64 v81, s35, v65, v17, s35
	global_load_b32 v80, v[80:81], off
.LBB33_46:                              ;   in Loop: Header=BB33_2 Depth=1
	s_or_b32 exec_lo, exec_lo, s39
	s_waitcnt vmcnt(0)
	ds_store_b32 v74, v80 offset:32
	;; [unrolled: 47-line block ×7, first 2 shown]
	s_and_saveexec_b32 s39, s31
	s_cbranch_execz .LBB33_88
; %bb.87:                               ;   in Loop: Header=BB33_2 Depth=1
	v_add_co_u32 v78, s35, v64, v58
	s_delay_alu instid0(VALU_DEP_1)
	v_add_co_ci_u32_e64 v79, s35, v65, v59, s35
	global_load_b32 v79, v[78:79], off
.LBB33_88:                              ;   in Loop: Header=BB33_2 Depth=1
	s_or_b32 exec_lo, exec_lo, s39
	v_mov_b32_e32 v78, 0
	v_mov_b32_e32 v80, 0
	s_waitcnt vmcnt(0)
	ds_store_b32 v74, v79 offset:116
	s_and_saveexec_b32 s39, s33
	s_cbranch_execz .LBB33_90
; %bb.89:                               ;   in Loop: Header=BB33_2 Depth=1
	v_add_co_u32 v79, s35, v64, v60
	s_delay_alu instid0(VALU_DEP_1)
	v_add_co_ci_u32_e64 v80, s35, v65, v61, s35
	global_load_b32 v80, v[79:80], off
.LBB33_90:                              ;   in Loop: Header=BB33_2 Depth=1
	s_or_b32 exec_lo, exec_lo, s39
	s_waitcnt vmcnt(0)
	ds_store_b32 v74, v80 offset:120
	s_and_saveexec_b32 s39, s34
	s_cbranch_execz .LBB33_92
; %bb.91:                               ;   in Loop: Header=BB33_2 Depth=1
	v_add_co_u32 v64, s35, v64, v62
	s_delay_alu instid0(VALU_DEP_1)
	v_add_co_ci_u32_e64 v65, s35, v65, v63, s35
	global_load_b32 v78, v[64:65], off
.LBB33_92:                              ;   in Loop: Header=BB33_2 Depth=1
	s_or_b32 exec_lo, exec_lo, s39
	v_mov_b32_e32 v64, v77
	s_mov_b32 s35, 0
	s_waitcnt vmcnt(0)
	ds_store_b32 v74, v78 offset:124
	s_waitcnt lgkmcnt(0)
	s_barrier
	buffer_gl0_inv
	.p2align	6
.LBB33_93:                              ;   Parent Loop BB33_2 Depth=1
                                        ; =>  This Inner Loop Header: Depth=2
	v_add_nc_u32_e32 v65, s35, v76
	s_addk_i32 s35, 0x100
	ds_load_2addr_b32 v[78:79], v64 offset1:32
	ds_load_2addr_b32 v[80:81], v65 offset1:8
	ds_load_2addr_b32 v[82:83], v64 offset0:64 offset1:96
	ds_load_2addr_b32 v[84:85], v65 offset0:16 offset1:24
	;; [unrolled: 1-line block ×4, first 2 shown]
	s_cmpk_eq_i32 s35, 0x2000
	s_waitcnt lgkmcnt(4)
	v_fmac_f32_e32 v75, v80, v78
	s_delay_alu instid0(VALU_DEP_1) | instskip(SKIP_4) | instid1(VALU_DEP_1)
	v_fmac_f32_e32 v75, v81, v79
	ds_load_2addr_b32 v[78:79], v64 offset0:192 offset1:224
	ds_load_2addr_b32 v[80:81], v65 offset0:48 offset1:56
	s_waitcnt lgkmcnt(4)
	v_dual_fmac_f32 v75, v84, v82 :: v_dual_add_nc_u32 v64, 0x400, v64
	v_fmac_f32_e32 v75, v85, v83
	s_waitcnt lgkmcnt(2)
	s_delay_alu instid0(VALU_DEP_1) | instskip(NEXT) | instid1(VALU_DEP_1)
	v_fmac_f32_e32 v75, v88, v86
	v_fmac_f32_e32 v75, v89, v87
	s_waitcnt lgkmcnt(0)
	s_delay_alu instid0(VALU_DEP_1) | instskip(NEXT) | instid1(VALU_DEP_1)
	v_fmac_f32_e32 v75, v80, v78
	v_fmac_f32_e32 v75, v81, v79
	s_cbranch_scc0 .LBB33_93
; %bb.94:                               ;   in Loop: Header=BB33_2 Depth=1
	s_add_i32 s37, s37, 1
	s_delay_alu instid0(SALU_CYCLE_1)
	s_cmp_eq_u32 s37, s48
	s_barrier
	buffer_gl0_inv
	s_cbranch_scc0 .LBB33_2
; %bb.95:
	s_branch .LBB33_98
.LBB33_96:
                                        ; implicit-def: $vgpr75
                                        ; implicit-def: $vgpr67
	s_cbranch_execz .LBB33_98
; %bb.97:
	v_mov_b32_e32 v75, 0
	v_mov_b32_e32 v67, v68
.LBB33_98:
	v_or_b32_e32 v0, s47, v66
	s_delay_alu instid0(VALU_DEP_2) | instskip(NEXT) | instid1(VALU_DEP_2)
	v_cmp_gt_u32_e64 s2, s36, v67
	v_cmp_gt_u32_e32 vcc_lo, s38, v0
	s_delay_alu instid0(VALU_DEP_2) | instskip(NEXT) | instid1(SALU_CYCLE_1)
	s_and_b32 s2, vcc_lo, s2
	s_and_saveexec_b32 s3, s2
	s_cbranch_execz .LBB33_102
; %bb.99:
	s_load_b64 s[0:1], s[0:1], 0x2c
	v_mul_lo_u32 v0, s36, v0
	v_mov_b32_e32 v1, 0
	s_waitcnt lgkmcnt(0)
	s_lshr_b32 s0, s0, 2
	s_cmp_eq_u32 s1, 0
	s_delay_alu instid0(VALU_DEP_2) | instskip(NEXT) | instid1(VALU_DEP_1)
	v_add3_u32 v0, v0, v67, s0
	v_lshlrev_b64 v[0:1], 2, v[0:1]
	s_delay_alu instid0(VALU_DEP_1) | instskip(NEXT) | instid1(VALU_DEP_2)
	v_add_co_u32 v0, vcc_lo, s44, v0
	v_add_co_ci_u32_e32 v1, vcc_lo, s45, v1, vcc_lo
	s_cbranch_scc1 .LBB33_101
; %bb.100:
	global_load_b32 v2, v[0:1], off
	s_waitcnt vmcnt(0)
	v_add_f32_e32 v75, v75, v2
.LBB33_101:
	global_store_b32 v[0:1], v75, off
.LBB33_102:
	s_nop 0
	s_sendmsg sendmsg(MSG_DEALLOC_VGPRS)
	s_endpgm
	.section	.rodata,"a",@progbits
	.p2align	6, 0x0
	.amdhsa_kernel gemm_q4k_tiled
		.amdhsa_group_segment_fixed_size 40960
		.amdhsa_private_segment_fixed_size 0
		.amdhsa_kernarg_size 52
		.amdhsa_user_sgpr_count 14
		.amdhsa_user_sgpr_dispatch_ptr 0
		.amdhsa_user_sgpr_queue_ptr 0
		.amdhsa_user_sgpr_kernarg_segment_ptr 1
		.amdhsa_user_sgpr_dispatch_id 0
		.amdhsa_user_sgpr_private_segment_size 0
		.amdhsa_wavefront_size32 1
		.amdhsa_uses_dynamic_stack 0
		.amdhsa_enable_private_segment 0
		.amdhsa_system_sgpr_workgroup_id_x 1
		.amdhsa_system_sgpr_workgroup_id_y 1
		.amdhsa_system_sgpr_workgroup_id_z 0
		.amdhsa_system_sgpr_workgroup_info 0
		.amdhsa_system_vgpr_workitem_id 0
		.amdhsa_next_free_vgpr 92
		.amdhsa_next_free_sgpr 52
		.amdhsa_reserve_vcc 1
		.amdhsa_float_round_mode_32 0
		.amdhsa_float_round_mode_16_64 0
		.amdhsa_float_denorm_mode_32 3
		.amdhsa_float_denorm_mode_16_64 3
		.amdhsa_dx10_clamp 1
		.amdhsa_ieee_mode 1
		.amdhsa_fp16_overflow 0
		.amdhsa_workgroup_processor_mode 1
		.amdhsa_memory_ordered 1
		.amdhsa_forward_progress 0
		.amdhsa_shared_vgpr_count 0
		.amdhsa_exception_fp_ieee_invalid_op 0
		.amdhsa_exception_fp_denorm_src 0
		.amdhsa_exception_fp_ieee_div_zero 0
		.amdhsa_exception_fp_ieee_overflow 0
		.amdhsa_exception_fp_ieee_underflow 0
		.amdhsa_exception_fp_ieee_inexact 0
		.amdhsa_exception_int_div_zero 0
	.end_amdhsa_kernel
	.text
.Lfunc_end33:
	.size	gemm_q4k_tiled, .Lfunc_end33-gemm_q4k_tiled
                                        ; -- End function
	.section	.AMDGPU.csdata,"",@progbits
; Kernel info:
; codeLenInByte = 4704
; NumSgprs: 54
; NumVgprs: 92
; ScratchSize: 0
; MemoryBound: 0
; FloatMode: 240
; IeeeMode: 1
; LDSByteSize: 40960 bytes/workgroup (compile time only)
; SGPRBlocks: 6
; VGPRBlocks: 11
; NumSGPRsForWavesPerEU: 54
; NumVGPRsForWavesPerEU: 92
; Occupancy: 16
; WaveLimiterHint : 0
; COMPUTE_PGM_RSRC2:SCRATCH_EN: 0
; COMPUTE_PGM_RSRC2:USER_SGPR: 14
; COMPUTE_PGM_RSRC2:TRAP_HANDLER: 0
; COMPUTE_PGM_RSRC2:TGID_X_EN: 1
; COMPUTE_PGM_RSRC2:TGID_Y_EN: 1
; COMPUTE_PGM_RSRC2:TGID_Z_EN: 0
; COMPUTE_PGM_RSRC2:TIDIG_COMP_CNT: 0
	.text
	.protected	gemm_q4k_tiled_v2       ; -- Begin function gemm_q4k_tiled_v2
	.globl	gemm_q4k_tiled_v2
	.p2align	8
	.type	gemm_q4k_tiled_v2,@function
gemm_q4k_tiled_v2:                      ; @gemm_q4k_tiled_v2
; %bb.0:
	s_clause 0x3
	s_load_b128 s[20:23], s[0:1], 0x18
	s_load_b128 s[24:27], s[0:1], 0x0
	s_load_b64 s[18:19], s[0:1], 0x10
	s_load_b64 s[28:29], s[0:1], 0x2c
	v_lshrrev_b32_e32 v1, 4, v0
	v_and_b32_e32 v2, 15, v0
	s_lshl_b32 s17, s14, 6
	s_lshl_b32 s31, s15, 6
	s_delay_alu instid0(VALU_DEP_2) | instskip(NEXT) | instid1(VALU_DEP_2)
	v_lshlrev_b32_e32 v14, 2, v1
	v_lshlrev_b32_e32 v15, 2, v2
	s_waitcnt lgkmcnt(0)
	s_cmp_gt_u32 s21, 31
	s_cbranch_scc0 .LBB34_243
; %bb.1:
	v_dual_mov_b32 v50, 0 :: v_dual_and_b32 v21, 31, v0
	v_lshrrev_b32_e32 v5, 5, v0
	v_add_nc_u32_e32 v4, 0x100, v0
	v_add_nc_u32_e32 v6, 0x200, v0
	s_delay_alu instid0(VALU_DEP_4)
	v_lshlrev_b32_e32 v3, 6, v21
	s_lshr_b32 s8, s21, 8
	s_load_b32 s16, s[0:1], 0x28
	v_lshrrev_b32_e32 v8, 5, v4
	v_or_b32_e32 v4, s17, v5
	v_or_b32_e32 v7, v5, v3
	v_lshrrev_b32_e32 v6, 5, v6
	v_or_b32_e32 v11, 32, v5
	v_or_b32_e32 v9, v8, v3
	v_cmp_gt_u32_e64 s0, s20, v4
	v_lshlrev_b32_e32 v23, 2, v7
	v_or_b32_e32 v7, s17, v8
	v_mul_lo_u32 v24, v4, s8
	v_add_nc_u32_e32 v4, 0x300, v0
	v_lshlrev_b32_e32 v26, 2, v9
	v_or_b32_e32 v9, s17, v6
	v_cmp_gt_u32_e64 s1, s20, v7
	v_or_b32_e32 v10, v6, v3
	v_mul_lo_u32 v27, v7, s8
	v_lshrrev_b32_e32 v7, 5, v4
	v_cmp_gt_u32_e64 s2, s20, v9
	v_mul_lo_u32 v30, v9, s8
	v_lshlrev_b32_e32 v29, 2, v10
	v_dual_mov_b32 v19, 0 :: v_dual_add_nc_u32 v10, 0x500, v0
	v_or_b32_e32 v9, v7, v3
	v_or_b32_e32 v4, s17, v7
	v_mov_b32_e32 v45, 0
	v_lshlrev_b32_e32 v17, 2, v1
	v_lshl_or_b32 v47, v1, 4, 0x2000
	v_dual_mov_b32 v33, 0 :: v_dual_lshlrev_b32 v32, 2, v9
	v_lshrrev_b32_e32 v9, 5, v10
	v_add_nc_u32_e32 v10, 0x600, v0
	v_cmp_gt_u32_e64 s3, s20, v4
	v_mul_lo_u32 v34, v4, s8
	v_or_b32_e32 v4, s17, v11
	v_add_nc_u32_e32 v0, 0x700, v0
	v_lshrrev_b32_e32 v10, 5, v10
	v_add_nc_u32_e32 v12, s17, v9
	v_add_lshl_u32 v37, v9, v3, 2
	v_cmp_gt_u32_e64 s4, s20, v4
	v_mul_lo_u32 v36, v4, s8
	v_lshrrev_b32_e32 v0, 5, v0
	v_add_nc_u32_e32 v4, s17, v10
	v_cmp_gt_u32_e64 s5, s20, v12
	v_mul_lo_u32 v38, v12, s8
	v_add_lshl_u32 v39, v10, v3, 2
	v_add_nc_u32_e32 v12, s17, v0
	v_cmp_gt_u32_e64 s6, s20, v4
	v_mul_lo_u32 v41, v4, s8
	v_add_lshl_u32 v43, v0, v3, 2
	v_or_b32_e32 v3, s31, v5
	v_or_b32_e32 v4, s31, v8
	v_mul_lo_u32 v44, v12, s8
	v_add_nc_u32_e32 v0, s31, v0
	v_add_nc_u32_e32 v10, s31, v10
	v_cmp_gt_u32_e64 s8, s22, v3
	v_cmp_gt_u32_e64 s9, s22, v4
	v_or_b32_e32 v3, s31, v7
	v_or_b32_e32 v4, s31, v11
	v_add_nc_u32_e32 v9, s31, v9
	v_cmp_gt_u32_e64 s15, s22, v0
	v_cmp_gt_u32_e64 s14, s22, v10
	;; [unrolled: 1-line block ×4, first 2 shown]
	v_mad_u64_u32 v[3:4], null, s21, v0, 0
	v_mad_u64_u32 v[0:1], null, s21, v10, 0
	v_add_nc_u32_e32 v10, s31, v5
	v_lshlrev_b32_e32 v18, 2, v2
	v_cmp_gt_u32_e64 s7, s20, v12
	v_lshlrev_b32_e32 v48, 4, v2
	v_lshlrev_b64 v[2:3], 2, v[3:4]
	v_mov_b32_e32 v12, 0
	v_mad_u64_u32 v[4:5], null, s21, v9, 0
	s_waitcnt lgkmcnt(0)
	s_and_b32 s16, s16, -4
	s_lshr_b32 s33, s21, 5
	s_lshr_b32 s30, s23, 2
	v_cmp_gt_u32_e64 s13, s22, v9
	v_dual_mov_b32 v20, 0 :: v_dual_add_nc_u32 v9, 32, v10
	s_add_u32 s16, s26, s16
	v_lshlrev_b64 v[0:1], 2, v[0:1]
	s_addc_u32 s23, s27, 0
	v_add_co_u32 v51, vcc_lo, s16, v2
	v_add_co_ci_u32_e32 v52, vcc_lo, s23, v3, vcc_lo
	v_lshlrev_b64 v[2:3], 2, v[4:5]
	v_mad_u64_u32 v[4:5], null, s21, v9, 0
	v_add_co_u32 v53, vcc_lo, s16, v0
	v_dual_mov_b32 v22, 0 :: v_dual_add_nc_u32 v7, s31, v7
	v_add_co_ci_u32_e32 v54, vcc_lo, s23, v1, vcc_lo
	v_or_b32_e32 v13, s31, v6
	v_add_co_u32 v55, vcc_lo, s16, v2
	v_add_nc_u32_e32 v6, s31, v6
	v_add_co_ci_u32_e32 v56, vcc_lo, s23, v3, vcc_lo
	v_lshlrev_b64 v[0:1], 2, v[4:5]
	v_mad_u64_u32 v[2:3], null, s21, v7, 0
	s_delay_alu instid0(VALU_DEP_4) | instskip(SKIP_1) | instid1(VALU_DEP_4)
	v_mad_u64_u32 v[4:5], null, s21, v6, 0
	v_add_nc_u32_e32 v6, s31, v8
	v_add_co_u32 v57, vcc_lo, s16, v0
	v_add_co_ci_u32_e32 v58, vcc_lo, s23, v1, vcc_lo
	v_lshlrev_b64 v[0:1], 2, v[2:3]
	s_delay_alu instid0(VALU_DEP_4) | instskip(SKIP_2) | instid1(VALU_DEP_4)
	v_mad_u64_u32 v[2:3], null, s21, v6, 0
	v_mad_u64_u32 v[6:7], null, s21, v10, 0
	v_lshlrev_b64 v[4:5], 2, v[4:5]
	v_add_co_u32 v59, vcc_lo, s16, v0
	v_add_co_ci_u32_e32 v60, vcc_lo, s23, v1, vcc_lo
	v_lshlrev_b64 v[0:1], 2, v[2:3]
	s_delay_alu instid0(VALU_DEP_4) | instskip(SKIP_2) | instid1(VALU_DEP_4)
	v_add_co_u32 v61, vcc_lo, s16, v4
	v_lshlrev_b64 v[2:3], 2, v[6:7]
	v_add_co_ci_u32_e32 v62, vcc_lo, s23, v5, vcc_lo
	v_add_co_u32 v63, vcc_lo, s16, v0
	v_add_co_ci_u32_e32 v64, vcc_lo, s23, v1, vcc_lo
	s_delay_alu instid0(VALU_DEP_4)
	v_add_co_u32 v65, vcc_lo, s16, v2
	v_or_b32_e32 v35, 0x2000, v32
	v_add_nc_u32_e32 v40, 0x2000, v37
	v_add_nc_u32_e32 v42, 0x2000, v39
	;; [unrolled: 1-line block ×3, first 2 shown]
	v_cmp_gt_u32_e64 s10, s22, v13
	v_dual_mov_b32 v16, 0 :: v_dual_lshlrev_b32 v49, 2, v21
	v_add_co_ci_u32_e32 v66, vcc_lo, s23, v3, vcc_lo
	v_dual_mov_b32 v4, 0 :: v_dual_mov_b32 v5, 0
	v_dual_mov_b32 v6, 0 :: v_dual_mov_b32 v7, 0
	v_mov_b32_e32 v8, 0
	v_or_b32_e32 v25, 0x2000, v23
	v_dual_mov_b32 v9, 0 :: v_dual_mov_b32 v10, 0
	v_or_b32_e32 v31, 0x2000, v29
	v_mov_b32_e32 v11, 0
	v_mov_b32_e32 v13, 0
	v_or_b32_e32 v28, 0x2000, v26
	s_mov_b32 s21, 0
	s_branch .LBB34_3
.LBB34_2:                               ;   in Loop: Header=BB34_3 Depth=1
	s_or_b32 exec_lo, exec_lo, s16
	s_waitcnt vmcnt(0)
	ds_store_b32 v43, v1
	s_waitcnt lgkmcnt(0)
	s_barrier
	buffer_gl0_inv
	ds_load_b128 v[0:3], v48
	ds_load_b128 v[67:70], v47
	ds_load_b128 v[71:74], v47 offset:256
	ds_load_b128 v[75:78], v48 offset:256
	;; [unrolled: 1-line block ×4, first 2 shown]
	v_add_co_u32 v51, vcc_lo, 0x80, v51
	v_add_co_ci_u32_e32 v52, vcc_lo, 0, v52, vcc_lo
	v_add_co_u32 v53, vcc_lo, 0x80, v53
	v_add_co_ci_u32_e32 v54, vcc_lo, 0, v54, vcc_lo
	;; [unrolled: 2-line block ×4, first 2 shown]
	s_waitcnt lgkmcnt(4)
	v_dual_fmac_f32 v45, v67, v0 :: v_dual_fmac_f32 v16, v68, v1
	v_dual_fmac_f32 v33, v67, v1 :: v_dual_fmac_f32 v12, v68, v3
	v_dual_fmac_f32 v22, v67, v2 :: v_dual_fmac_f32 v19, v68, v0
	v_dual_fmac_f32 v20, v67, v3 :: v_dual_fmac_f32 v13, v68, v2
	v_dual_fmac_f32 v11, v69, v0 :: v_dual_fmac_f32 v6, v70, v1
	v_dual_fmac_f32 v10, v69, v1 :: v_dual_fmac_f32 v7, v70, v0
	v_dual_fmac_f32 v9, v69, v2 :: v_dual_fmac_f32 v4, v70, v3
	v_dual_fmac_f32 v8, v69, v3 :: v_dual_fmac_f32 v5, v70, v2
	ds_load_b128 v[0:3], v47 offset:768
	ds_load_b128 v[67:70], v48 offset:768
	s_waitcnt lgkmcnt(4)
	v_dual_fmac_f32 v45, v71, v75 :: v_dual_fmac_f32 v16, v72, v76
	v_dual_fmac_f32 v33, v71, v76 :: v_dual_fmac_f32 v12, v72, v78
	v_dual_fmac_f32 v22, v71, v77 :: v_dual_fmac_f32 v19, v72, v75
	v_dual_fmac_f32 v20, v71, v78 :: v_dual_fmac_f32 v13, v72, v77
	v_dual_fmac_f32 v11, v73, v75 :: v_dual_fmac_f32 v6, v74, v76
	v_dual_fmac_f32 v10, v73, v76 :: v_dual_fmac_f32 v7, v74, v75
	v_dual_fmac_f32 v9, v73, v77 :: v_dual_fmac_f32 v4, v74, v78
	v_dual_fmac_f32 v8, v73, v78 :: v_dual_fmac_f32 v5, v74, v77
	ds_load_b128 v[71:74], v48 offset:1024
	ds_load_b128 v[75:78], v47 offset:1024
	;; [unrolled: 11-line block ×29, first 2 shown]
	v_add_co_u32 v59, vcc_lo, 0x80, v59
	s_waitcnt lgkmcnt(4)
	v_dual_fmac_f32 v45, v79, v83 :: v_dual_fmac_f32 v16, v80, v84
	v_dual_fmac_f32 v33, v79, v84 :: v_dual_fmac_f32 v12, v80, v86
	;; [unrolled: 1-line block ×8, first 2 shown]
	v_add_co_ci_u32_e32 v60, vcc_lo, 0, v60, vcc_lo
	v_add_co_u32 v61, vcc_lo, 0x80, v61
	v_add_co_ci_u32_e32 v62, vcc_lo, 0, v62, vcc_lo
	s_waitcnt lgkmcnt(2)
	v_dual_fmac_f32 v45, v67, v0 :: v_dual_fmac_f32 v16, v68, v1
	v_dual_fmac_f32 v33, v67, v1 :: v_dual_fmac_f32 v12, v68, v3
	;; [unrolled: 1-line block ×8, first 2 shown]
	v_add_co_u32 v63, vcc_lo, 0x80, v63
	v_add_co_ci_u32_e32 v64, vcc_lo, 0, v64, vcc_lo
	v_add_co_u32 v65, vcc_lo, 0x80, v65
	s_waitcnt lgkmcnt(0)
	v_dual_fmac_f32 v45, v71, v75 :: v_dual_fmac_f32 v16, v72, v76
	v_dual_fmac_f32 v33, v71, v76 :: v_dual_fmac_f32 v12, v72, v78
	;; [unrolled: 1-line block ×8, first 2 shown]
	v_add_co_ci_u32_e32 v66, vcc_lo, 0, v66, vcc_lo
	s_add_i32 s21, s21, 1
	s_delay_alu instid0(SALU_CYCLE_1)
	s_cmp_eq_u32 s33, s21
	s_barrier
	buffer_gl0_inv
	s_cbranch_scc1 .LBB34_244
.LBB34_3:                               ; =>This Inner Loop Header: Depth=1
	s_and_b32 s23, s21, 7
	s_lshr_b32 s27, s21, 3
	s_cmp_gt_u32 s23, 3
	v_mov_b32_e32 v0, 0
	s_cselect_b32 s26, -1, 0
	s_lshl_b32 s16, s21, 4
	s_bitcmp0_b32 s21, 0
	v_and_or_b32 v67, 0x60, s16, v21
	s_cselect_b32 s16, -1, 0
	s_and_saveexec_b32 s34, s0
	s_cbranch_execz .LBB34_31
; %bb.4:                                ;   in Loop: Header=BB34_3 Depth=1
	v_add_nc_u32_e32 v2, s27, v24
	s_mov_b32 s35, exec_lo
	s_delay_alu instid0(VALU_DEP_1) | instskip(SKIP_1) | instid1(VALU_DEP_1)
	v_mad_u64_u32 v[0:1], null, v2, 36, s[30:31]
	v_mov_b32_e32 v1, v50
	v_lshlrev_b64 v[0:1], 2, v[0:1]
	s_delay_alu instid0(VALU_DEP_1) | instskip(NEXT) | instid1(VALU_DEP_2)
	v_add_co_u32 v0, vcc_lo, s24, v0
	v_add_co_ci_u32_e32 v1, vcc_lo, s25, v1, vcc_lo
	global_load_b32 v2, v[0:1], off
	s_waitcnt vmcnt(0)
	v_bfe_u32 v3, v2, 15, 1
	v_bfe_u32 v69, v2, 10, 5
	s_delay_alu instid0(VALU_DEP_2) | instskip(NEXT) | instid1(VALU_DEP_2)
	v_lshlrev_b32_e32 v68, 31, v3
	v_cmpx_lt_i32_e32 30, v69
	s_xor_b32 s35, exec_lo, s35
; %bb.5:                                ;   in Loop: Header=BB34_3 Depth=1
	v_and_b32_e32 v68, 0xffff, v2
	v_lshlrev_b32_e32 v3, 31, v3
                                        ; implicit-def: $vgpr69
	s_delay_alu instid0(VALU_DEP_2) | instskip(NEXT) | instid1(VALU_DEP_1)
	v_lshlrev_b32_e32 v68, 13, v68
	v_or3_b32 v68, v3, v68, 0x7f800000
                                        ; implicit-def: $vgpr3
; %bb.6:                                ;   in Loop: Header=BB34_3 Depth=1
	s_and_not1_saveexec_b32 s35, s35
	s_cbranch_execz .LBB34_14
; %bb.7:                                ;   in Loop: Header=BB34_3 Depth=1
	v_and_b32_e32 v70, 0x3ff, v2
	s_mov_b32 s36, exec_lo
	v_cmpx_ne_u32_e32 0, v69
	s_xor_b32 s36, exec_lo, s36
; %bb.8:                                ;   in Loop: Header=BB34_3 Depth=1
	v_lshlrev_b32_e32 v3, 31, v3
	v_lshlrev_b32_e32 v68, 23, v69
	;; [unrolled: 1-line block ×3, first 2 shown]
                                        ; implicit-def: $vgpr70
	s_delay_alu instid0(VALU_DEP_1) | instskip(NEXT) | instid1(VALU_DEP_1)
	v_or3_b32 v3, v68, v3, v69
	v_add_nc_u32_e32 v68, 0x38000000, v3
                                        ; implicit-def: $vgpr3
; %bb.9:                                ;   in Loop: Header=BB34_3 Depth=1
	s_and_not1_saveexec_b32 s36, s36
	s_cbranch_execz .LBB34_13
; %bb.10:                               ;   in Loop: Header=BB34_3 Depth=1
	s_mov_b32 s37, exec_lo
	v_cmpx_ne_u32_e32 0, v70
	s_xor_b32 s37, exec_lo, s37
; %bb.11:                               ;   in Loop: Header=BB34_3 Depth=1
	v_clz_i32_u32_e32 v68, v70
	v_lshlrev_b32_e32 v3, 31, v3
	s_delay_alu instid0(VALU_DEP_2) | instskip(SKIP_1) | instid1(VALU_DEP_2)
	v_xor_b32_e32 v69, 31, v68
	v_lshlrev_b32_e32 v68, 23, v68
	v_sub_nc_u32_e32 v69, 9, v69
	s_delay_alu instid0(VALU_DEP_1) | instskip(NEXT) | instid1(VALU_DEP_1)
	v_lshlrev_b32_e32 v69, v69, v2
	v_lshlrev_b32_e32 v69, 14, v69
	s_delay_alu instid0(VALU_DEP_1) | instskip(NEXT) | instid1(VALU_DEP_1)
	v_and_or_b32 v3, 0x7fc000, v69, v3
	v_sub_nc_u32_e32 v3, v3, v68
	s_delay_alu instid0(VALU_DEP_1)
	v_add_nc_u32_e32 v68, 0x43000000, v3
; %bb.12:                               ;   in Loop: Header=BB34_3 Depth=1
	s_and_not1_saveexec_b32 s37, s37
	s_delay_alu instid0(SALU_CYCLE_1)
	s_or_b32 exec_lo, exec_lo, s37
.LBB34_13:                              ;   in Loop: Header=BB34_3 Depth=1
	s_delay_alu instid0(SALU_CYCLE_1)
	s_or_b32 exec_lo, exec_lo, s36
.LBB34_14:                              ;   in Loop: Header=BB34_3 Depth=1
	s_delay_alu instid0(SALU_CYCLE_1) | instskip(SKIP_3) | instid1(VALU_DEP_2)
	s_or_b32 exec_lo, exec_lo, s35
	v_bfe_u32 v70, v2, 26, 5
	v_lshrrev_b32_e32 v3, 16, v2
	s_mov_b32 s35, exec_lo
                                        ; implicit-def: $vgpr69
	v_cmpx_lt_i32_e32 30, v70
	s_xor_b32 s35, exec_lo, s35
; %bb.15:                               ;   in Loop: Header=BB34_3 Depth=1
	v_and_b32_e32 v2, 0x80000000, v2
	v_lshlrev_b32_e32 v3, 13, v3
                                        ; implicit-def: $vgpr70
	s_delay_alu instid0(VALU_DEP_1)
	v_or3_b32 v69, v3, v2, 0x7f800000
                                        ; implicit-def: $vgpr3
                                        ; implicit-def: $vgpr2
; %bb.16:                               ;   in Loop: Header=BB34_3 Depth=1
	s_and_not1_saveexec_b32 s35, s35
	s_cbranch_execz .LBB34_26
; %bb.17:                               ;   in Loop: Header=BB34_3 Depth=1
	v_and_b32_e32 v71, 0x3ff, v3
	s_mov_b32 s36, exec_lo
                                        ; implicit-def: $vgpr69
	v_cmpx_ne_u32_e32 0, v70
	s_xor_b32 s36, exec_lo, s36
; %bb.18:                               ;   in Loop: Header=BB34_3 Depth=1
	v_and_b32_e32 v2, 0x80000000, v2
	v_lshlrev_b32_e32 v3, 23, v70
	v_lshlrev_b32_e32 v69, 13, v71
                                        ; implicit-def: $vgpr71
	s_delay_alu instid0(VALU_DEP_1) | instskip(NEXT) | instid1(VALU_DEP_1)
	v_or3_b32 v2, v3, v2, v69
                                        ; implicit-def: $vgpr3
	v_add_nc_u32_e32 v69, 0x38000000, v2
                                        ; implicit-def: $vgpr2
; %bb.19:                               ;   in Loop: Header=BB34_3 Depth=1
	s_and_not1_saveexec_b32 s36, s36
	s_cbranch_execz .LBB34_25
; %bb.20:                               ;   in Loop: Header=BB34_3 Depth=1
	s_mov_b32 s37, exec_lo
                                        ; implicit-def: $vgpr69
	v_cmpx_ne_u32_e32 0, v71
	s_xor_b32 s37, exec_lo, s37
; %bb.21:                               ;   in Loop: Header=BB34_3 Depth=1
	v_clz_i32_u32_e32 v69, v71
	s_delay_alu instid0(VALU_DEP_1) | instskip(SKIP_1) | instid1(VALU_DEP_2)
	v_xor_b32_e32 v70, 31, v69
	v_lshlrev_b32_e32 v69, 23, v69
	v_sub_nc_u32_e32 v70, 9, v70
	s_delay_alu instid0(VALU_DEP_1) | instskip(NEXT) | instid1(VALU_DEP_1)
	v_lshlrev_b32_e32 v3, v70, v3
	v_lshlrev_b32_e32 v3, 14, v3
	s_delay_alu instid0(VALU_DEP_1) | instskip(NEXT) | instid1(VALU_DEP_1)
	v_and_b32_e32 v3, 0x7fc000, v3
	v_and_or_b32 v2, 0x80000000, v2, v3
	s_delay_alu instid0(VALU_DEP_1) | instskip(NEXT) | instid1(VALU_DEP_1)
	v_sub_nc_u32_e32 v2, v2, v69
	v_add_nc_u32_e32 v69, 0x43000000, v2
                                        ; implicit-def: $vgpr2
; %bb.22:                               ;   in Loop: Header=BB34_3 Depth=1
	s_and_not1_saveexec_b32 s37, s37
; %bb.23:                               ;   in Loop: Header=BB34_3 Depth=1
	v_and_b32_e32 v69, 0x80000000, v2
; %bb.24:                               ;   in Loop: Header=BB34_3 Depth=1
	s_or_b32 exec_lo, exec_lo, s37
.LBB34_25:                              ;   in Loop: Header=BB34_3 Depth=1
	s_delay_alu instid0(SALU_CYCLE_1)
	s_or_b32 exec_lo, exec_lo, s36
.LBB34_26:                              ;   in Loop: Header=BB34_3 Depth=1
	s_delay_alu instid0(SALU_CYCLE_1)
	s_or_b32 exec_lo, exec_lo, s35
	v_add_co_u32 v2, vcc_lo, v0, s23
	v_add_co_ci_u32_e32 v3, vcc_lo, 0, v1, vcc_lo
	s_and_b32 vcc_lo, exec_lo, s26
	s_cbranch_vccz .LBB34_28
; %bb.27:                               ;   in Loop: Header=BB34_3 Depth=1
	s_clause 0x2
	global_load_u8 v70, v[2:3], off
	global_load_u8 v71, v[2:3], off offset:4
	global_load_u8 v72, v[2:3], off offset:8
	s_waitcnt vmcnt(2)
	v_lshrrev_b16 v70, 2, v70
	s_waitcnt vmcnt(1)
	v_lshrrev_b16 v71, 2, v71
	s_waitcnt vmcnt(0)
	v_and_b32_e32 v73, 15, v72
	v_lshrrev_b16 v72, 4, v72
	v_and_b32_e32 v70, 48, v70
	v_and_b32_e32 v74, 48, v71
	s_delay_alu instid0(VALU_DEP_2) | instskip(NEXT) | instid1(VALU_DEP_2)
	v_or_b32_e32 v71, v70, v73
	v_or_b32_e32 v70, v74, v72
	s_cbranch_execz .LBB34_29
	s_branch .LBB34_30
.LBB34_28:                              ;   in Loop: Header=BB34_3 Depth=1
                                        ; implicit-def: $vgpr70
                                        ; implicit-def: $vgpr71
.LBB34_29:                              ;   in Loop: Header=BB34_3 Depth=1
	s_clause 0x1
	global_load_u8 v70, v[2:3], off offset:4
	global_load_u8 v2, v[2:3], off offset:8
	s_waitcnt vmcnt(1)
	v_and_b32_e32 v71, 63, v70
	s_waitcnt vmcnt(0)
	v_and_b32_e32 v70, 63, v2
.LBB34_30:                              ;   in Loop: Header=BB34_3 Depth=1
	v_add_co_u32 v0, vcc_lo, v0, v67
	v_add_co_ci_u32_e32 v1, vcc_lo, 0, v1, vcc_lo
	v_cvt_f32_ubyte0_e32 v2, v71
	global_load_u8 v0, v[0:1], off offset:16
	s_waitcnt vmcnt(0)
	v_dual_mul_f32 v2, v68, v2 :: v_dual_and_b32 v1, 15, v0
	v_lshrrev_b32_e32 v0, 4, v0
	s_delay_alu instid0(VALU_DEP_1) | instskip(SKIP_1) | instid1(VALU_DEP_2)
	v_cndmask_b32_e64 v0, v0, v1, s16
	v_cvt_f32_ubyte0_e32 v1, v70
	v_cvt_f32_ubyte0_e32 v0, v0
	s_delay_alu instid0(VALU_DEP_2) | instskip(NEXT) | instid1(VALU_DEP_1)
	v_mul_f32_e32 v1, v69, v1
	v_fma_f32 v0, v2, v0, -v1
.LBB34_31:                              ;   in Loop: Header=BB34_3 Depth=1
	s_or_b32 exec_lo, exec_lo, s34
	v_mov_b32_e32 v1, 0
	ds_store_b32 v25, v0
	s_and_saveexec_b32 s34, s1
	s_cbranch_execz .LBB34_59
; %bb.32:                               ;   in Loop: Header=BB34_3 Depth=1
	v_add_nc_u32_e32 v2, s27, v27
	s_mov_b32 s35, exec_lo
	s_delay_alu instid0(VALU_DEP_1) | instskip(SKIP_1) | instid1(VALU_DEP_1)
	v_mad_u64_u32 v[0:1], null, v2, 36, s[30:31]
	v_mov_b32_e32 v1, v50
	v_lshlrev_b64 v[0:1], 2, v[0:1]
	s_delay_alu instid0(VALU_DEP_1) | instskip(NEXT) | instid1(VALU_DEP_2)
	v_add_co_u32 v0, vcc_lo, s24, v0
	v_add_co_ci_u32_e32 v1, vcc_lo, s25, v1, vcc_lo
	global_load_b32 v2, v[0:1], off
	s_waitcnt vmcnt(0)
	v_bfe_u32 v3, v2, 15, 1
	v_bfe_u32 v69, v2, 10, 5
	s_delay_alu instid0(VALU_DEP_2) | instskip(NEXT) | instid1(VALU_DEP_2)
	v_lshlrev_b32_e32 v68, 31, v3
	v_cmpx_lt_i32_e32 30, v69
	s_xor_b32 s35, exec_lo, s35
; %bb.33:                               ;   in Loop: Header=BB34_3 Depth=1
	v_and_b32_e32 v68, 0xffff, v2
	v_lshlrev_b32_e32 v3, 31, v3
                                        ; implicit-def: $vgpr69
	s_delay_alu instid0(VALU_DEP_2) | instskip(NEXT) | instid1(VALU_DEP_1)
	v_lshlrev_b32_e32 v68, 13, v68
	v_or3_b32 v68, v3, v68, 0x7f800000
                                        ; implicit-def: $vgpr3
; %bb.34:                               ;   in Loop: Header=BB34_3 Depth=1
	s_and_not1_saveexec_b32 s35, s35
	s_cbranch_execz .LBB34_42
; %bb.35:                               ;   in Loop: Header=BB34_3 Depth=1
	v_and_b32_e32 v70, 0x3ff, v2
	s_mov_b32 s36, exec_lo
	v_cmpx_ne_u32_e32 0, v69
	s_xor_b32 s36, exec_lo, s36
; %bb.36:                               ;   in Loop: Header=BB34_3 Depth=1
	v_lshlrev_b32_e32 v3, 31, v3
	v_lshlrev_b32_e32 v68, 23, v69
	;; [unrolled: 1-line block ×3, first 2 shown]
                                        ; implicit-def: $vgpr70
	s_delay_alu instid0(VALU_DEP_1) | instskip(NEXT) | instid1(VALU_DEP_1)
	v_or3_b32 v3, v68, v3, v69
	v_add_nc_u32_e32 v68, 0x38000000, v3
                                        ; implicit-def: $vgpr3
; %bb.37:                               ;   in Loop: Header=BB34_3 Depth=1
	s_and_not1_saveexec_b32 s36, s36
	s_cbranch_execz .LBB34_41
; %bb.38:                               ;   in Loop: Header=BB34_3 Depth=1
	s_mov_b32 s37, exec_lo
	v_cmpx_ne_u32_e32 0, v70
	s_xor_b32 s37, exec_lo, s37
; %bb.39:                               ;   in Loop: Header=BB34_3 Depth=1
	v_clz_i32_u32_e32 v68, v70
	v_lshlrev_b32_e32 v3, 31, v3
	s_delay_alu instid0(VALU_DEP_2) | instskip(SKIP_1) | instid1(VALU_DEP_2)
	v_xor_b32_e32 v69, 31, v68
	v_lshlrev_b32_e32 v68, 23, v68
	v_sub_nc_u32_e32 v69, 9, v69
	s_delay_alu instid0(VALU_DEP_1) | instskip(NEXT) | instid1(VALU_DEP_1)
	v_lshlrev_b32_e32 v69, v69, v2
	v_lshlrev_b32_e32 v69, 14, v69
	s_delay_alu instid0(VALU_DEP_1) | instskip(NEXT) | instid1(VALU_DEP_1)
	v_and_or_b32 v3, 0x7fc000, v69, v3
	v_sub_nc_u32_e32 v3, v3, v68
	s_delay_alu instid0(VALU_DEP_1)
	v_add_nc_u32_e32 v68, 0x43000000, v3
; %bb.40:                               ;   in Loop: Header=BB34_3 Depth=1
	s_and_not1_saveexec_b32 s37, s37
	s_delay_alu instid0(SALU_CYCLE_1)
	s_or_b32 exec_lo, exec_lo, s37
.LBB34_41:                              ;   in Loop: Header=BB34_3 Depth=1
	s_delay_alu instid0(SALU_CYCLE_1)
	s_or_b32 exec_lo, exec_lo, s36
.LBB34_42:                              ;   in Loop: Header=BB34_3 Depth=1
	s_delay_alu instid0(SALU_CYCLE_1) | instskip(SKIP_3) | instid1(VALU_DEP_2)
	s_or_b32 exec_lo, exec_lo, s35
	v_bfe_u32 v70, v2, 26, 5
	v_lshrrev_b32_e32 v3, 16, v2
	s_mov_b32 s35, exec_lo
                                        ; implicit-def: $vgpr69
	v_cmpx_lt_i32_e32 30, v70
	s_xor_b32 s35, exec_lo, s35
; %bb.43:                               ;   in Loop: Header=BB34_3 Depth=1
	v_and_b32_e32 v2, 0x80000000, v2
	v_lshlrev_b32_e32 v3, 13, v3
                                        ; implicit-def: $vgpr70
	s_delay_alu instid0(VALU_DEP_1)
	v_or3_b32 v69, v3, v2, 0x7f800000
                                        ; implicit-def: $vgpr3
                                        ; implicit-def: $vgpr2
; %bb.44:                               ;   in Loop: Header=BB34_3 Depth=1
	s_and_not1_saveexec_b32 s35, s35
	s_cbranch_execz .LBB34_54
; %bb.45:                               ;   in Loop: Header=BB34_3 Depth=1
	v_and_b32_e32 v71, 0x3ff, v3
	s_mov_b32 s36, exec_lo
                                        ; implicit-def: $vgpr69
	v_cmpx_ne_u32_e32 0, v70
	s_xor_b32 s36, exec_lo, s36
; %bb.46:                               ;   in Loop: Header=BB34_3 Depth=1
	v_and_b32_e32 v2, 0x80000000, v2
	v_lshlrev_b32_e32 v3, 23, v70
	v_lshlrev_b32_e32 v69, 13, v71
                                        ; implicit-def: $vgpr71
	s_delay_alu instid0(VALU_DEP_1) | instskip(NEXT) | instid1(VALU_DEP_1)
	v_or3_b32 v2, v3, v2, v69
                                        ; implicit-def: $vgpr3
	v_add_nc_u32_e32 v69, 0x38000000, v2
                                        ; implicit-def: $vgpr2
; %bb.47:                               ;   in Loop: Header=BB34_3 Depth=1
	s_and_not1_saveexec_b32 s36, s36
	s_cbranch_execz .LBB34_53
; %bb.48:                               ;   in Loop: Header=BB34_3 Depth=1
	s_mov_b32 s37, exec_lo
                                        ; implicit-def: $vgpr69
	v_cmpx_ne_u32_e32 0, v71
	s_xor_b32 s37, exec_lo, s37
; %bb.49:                               ;   in Loop: Header=BB34_3 Depth=1
	v_clz_i32_u32_e32 v69, v71
	s_delay_alu instid0(VALU_DEP_1) | instskip(SKIP_1) | instid1(VALU_DEP_2)
	v_xor_b32_e32 v70, 31, v69
	v_lshlrev_b32_e32 v69, 23, v69
	v_sub_nc_u32_e32 v70, 9, v70
	s_delay_alu instid0(VALU_DEP_1) | instskip(NEXT) | instid1(VALU_DEP_1)
	v_lshlrev_b32_e32 v3, v70, v3
	v_lshlrev_b32_e32 v3, 14, v3
	s_delay_alu instid0(VALU_DEP_1) | instskip(NEXT) | instid1(VALU_DEP_1)
	v_and_b32_e32 v3, 0x7fc000, v3
	v_and_or_b32 v2, 0x80000000, v2, v3
	s_delay_alu instid0(VALU_DEP_1) | instskip(NEXT) | instid1(VALU_DEP_1)
	v_sub_nc_u32_e32 v2, v2, v69
	v_add_nc_u32_e32 v69, 0x43000000, v2
                                        ; implicit-def: $vgpr2
; %bb.50:                               ;   in Loop: Header=BB34_3 Depth=1
	s_and_not1_saveexec_b32 s37, s37
; %bb.51:                               ;   in Loop: Header=BB34_3 Depth=1
	v_and_b32_e32 v69, 0x80000000, v2
; %bb.52:                               ;   in Loop: Header=BB34_3 Depth=1
	s_or_b32 exec_lo, exec_lo, s37
.LBB34_53:                              ;   in Loop: Header=BB34_3 Depth=1
	s_delay_alu instid0(SALU_CYCLE_1)
	s_or_b32 exec_lo, exec_lo, s36
.LBB34_54:                              ;   in Loop: Header=BB34_3 Depth=1
	s_delay_alu instid0(SALU_CYCLE_1)
	s_or_b32 exec_lo, exec_lo, s35
	v_add_co_u32 v2, vcc_lo, v0, s23
	v_add_co_ci_u32_e32 v3, vcc_lo, 0, v1, vcc_lo
	s_and_not1_b32 vcc_lo, exec_lo, s26
	s_cbranch_vccnz .LBB34_56
; %bb.55:                               ;   in Loop: Header=BB34_3 Depth=1
	s_clause 0x2
	global_load_u8 v70, v[2:3], off
	global_load_u8 v71, v[2:3], off offset:4
	global_load_u8 v72, v[2:3], off offset:8
	s_waitcnt vmcnt(2)
	v_lshrrev_b16 v70, 2, v70
	s_waitcnt vmcnt(1)
	v_lshrrev_b16 v71, 2, v71
	s_waitcnt vmcnt(0)
	v_and_b32_e32 v73, 15, v72
	v_lshrrev_b16 v72, 4, v72
	v_and_b32_e32 v70, 48, v70
	v_and_b32_e32 v74, 48, v71
	s_delay_alu instid0(VALU_DEP_2) | instskip(NEXT) | instid1(VALU_DEP_2)
	v_or_b32_e32 v71, v70, v73
	v_or_b32_e32 v70, v74, v72
	s_cbranch_execz .LBB34_57
	s_branch .LBB34_58
.LBB34_56:                              ;   in Loop: Header=BB34_3 Depth=1
                                        ; implicit-def: $vgpr70
                                        ; implicit-def: $vgpr71
.LBB34_57:                              ;   in Loop: Header=BB34_3 Depth=1
	s_clause 0x1
	global_load_u8 v70, v[2:3], off offset:4
	global_load_u8 v2, v[2:3], off offset:8
	s_waitcnt vmcnt(1)
	v_and_b32_e32 v71, 63, v70
	s_waitcnt vmcnt(0)
	v_and_b32_e32 v70, 63, v2
.LBB34_58:                              ;   in Loop: Header=BB34_3 Depth=1
	v_add_co_u32 v0, vcc_lo, v0, v67
	v_add_co_ci_u32_e32 v1, vcc_lo, 0, v1, vcc_lo
	v_cvt_f32_ubyte0_e32 v2, v71
	global_load_u8 v0, v[0:1], off offset:16
	s_waitcnt vmcnt(0)
	v_dual_mul_f32 v2, v68, v2 :: v_dual_and_b32 v1, 15, v0
	v_lshrrev_b32_e32 v0, 4, v0
	s_delay_alu instid0(VALU_DEP_1) | instskip(SKIP_1) | instid1(VALU_DEP_2)
	v_cndmask_b32_e64 v0, v0, v1, s16
	v_cvt_f32_ubyte0_e32 v1, v70
	v_cvt_f32_ubyte0_e32 v0, v0
	s_delay_alu instid0(VALU_DEP_2) | instskip(NEXT) | instid1(VALU_DEP_1)
	v_mul_f32_e32 v1, v69, v1
	v_fma_f32 v1, v2, v0, -v1
.LBB34_59:                              ;   in Loop: Header=BB34_3 Depth=1
	s_or_b32 exec_lo, exec_lo, s34
	v_mov_b32_e32 v0, 0
	ds_store_b32 v28, v1
	s_and_saveexec_b32 s34, s2
	s_cbranch_execz .LBB34_87
; %bb.60:                               ;   in Loop: Header=BB34_3 Depth=1
	v_add_nc_u32_e32 v2, s27, v30
	s_mov_b32 s35, exec_lo
	s_delay_alu instid0(VALU_DEP_1) | instskip(SKIP_1) | instid1(VALU_DEP_1)
	v_mad_u64_u32 v[0:1], null, v2, 36, s[30:31]
	v_mov_b32_e32 v1, v50
	v_lshlrev_b64 v[0:1], 2, v[0:1]
	s_delay_alu instid0(VALU_DEP_1) | instskip(NEXT) | instid1(VALU_DEP_2)
	v_add_co_u32 v0, vcc_lo, s24, v0
	v_add_co_ci_u32_e32 v1, vcc_lo, s25, v1, vcc_lo
	global_load_b32 v2, v[0:1], off
	s_waitcnt vmcnt(0)
	v_bfe_u32 v3, v2, 15, 1
	v_bfe_u32 v69, v2, 10, 5
	s_delay_alu instid0(VALU_DEP_2) | instskip(NEXT) | instid1(VALU_DEP_2)
	v_lshlrev_b32_e32 v68, 31, v3
	v_cmpx_lt_i32_e32 30, v69
	s_xor_b32 s35, exec_lo, s35
; %bb.61:                               ;   in Loop: Header=BB34_3 Depth=1
	v_and_b32_e32 v68, 0xffff, v2
	v_lshlrev_b32_e32 v3, 31, v3
                                        ; implicit-def: $vgpr69
	s_delay_alu instid0(VALU_DEP_2) | instskip(NEXT) | instid1(VALU_DEP_1)
	v_lshlrev_b32_e32 v68, 13, v68
	v_or3_b32 v68, v3, v68, 0x7f800000
                                        ; implicit-def: $vgpr3
; %bb.62:                               ;   in Loop: Header=BB34_3 Depth=1
	s_and_not1_saveexec_b32 s35, s35
	s_cbranch_execz .LBB34_70
; %bb.63:                               ;   in Loop: Header=BB34_3 Depth=1
	v_and_b32_e32 v70, 0x3ff, v2
	s_mov_b32 s36, exec_lo
	v_cmpx_ne_u32_e32 0, v69
	s_xor_b32 s36, exec_lo, s36
; %bb.64:                               ;   in Loop: Header=BB34_3 Depth=1
	v_lshlrev_b32_e32 v3, 31, v3
	v_lshlrev_b32_e32 v68, 23, v69
	;; [unrolled: 1-line block ×3, first 2 shown]
                                        ; implicit-def: $vgpr70
	s_delay_alu instid0(VALU_DEP_1) | instskip(NEXT) | instid1(VALU_DEP_1)
	v_or3_b32 v3, v68, v3, v69
	v_add_nc_u32_e32 v68, 0x38000000, v3
                                        ; implicit-def: $vgpr3
; %bb.65:                               ;   in Loop: Header=BB34_3 Depth=1
	s_and_not1_saveexec_b32 s36, s36
	s_cbranch_execz .LBB34_69
; %bb.66:                               ;   in Loop: Header=BB34_3 Depth=1
	s_mov_b32 s37, exec_lo
	v_cmpx_ne_u32_e32 0, v70
	s_xor_b32 s37, exec_lo, s37
; %bb.67:                               ;   in Loop: Header=BB34_3 Depth=1
	v_clz_i32_u32_e32 v68, v70
	v_lshlrev_b32_e32 v3, 31, v3
	s_delay_alu instid0(VALU_DEP_2) | instskip(SKIP_1) | instid1(VALU_DEP_2)
	v_xor_b32_e32 v69, 31, v68
	v_lshlrev_b32_e32 v68, 23, v68
	v_sub_nc_u32_e32 v69, 9, v69
	s_delay_alu instid0(VALU_DEP_1) | instskip(NEXT) | instid1(VALU_DEP_1)
	v_lshlrev_b32_e32 v69, v69, v2
	v_lshlrev_b32_e32 v69, 14, v69
	s_delay_alu instid0(VALU_DEP_1) | instskip(NEXT) | instid1(VALU_DEP_1)
	v_and_or_b32 v3, 0x7fc000, v69, v3
	v_sub_nc_u32_e32 v3, v3, v68
	s_delay_alu instid0(VALU_DEP_1)
	v_add_nc_u32_e32 v68, 0x43000000, v3
; %bb.68:                               ;   in Loop: Header=BB34_3 Depth=1
	s_and_not1_saveexec_b32 s37, s37
	s_delay_alu instid0(SALU_CYCLE_1)
	s_or_b32 exec_lo, exec_lo, s37
.LBB34_69:                              ;   in Loop: Header=BB34_3 Depth=1
	s_delay_alu instid0(SALU_CYCLE_1)
	s_or_b32 exec_lo, exec_lo, s36
.LBB34_70:                              ;   in Loop: Header=BB34_3 Depth=1
	s_delay_alu instid0(SALU_CYCLE_1) | instskip(SKIP_3) | instid1(VALU_DEP_2)
	s_or_b32 exec_lo, exec_lo, s35
	v_bfe_u32 v70, v2, 26, 5
	v_lshrrev_b32_e32 v3, 16, v2
	s_mov_b32 s35, exec_lo
                                        ; implicit-def: $vgpr69
	v_cmpx_lt_i32_e32 30, v70
	s_xor_b32 s35, exec_lo, s35
; %bb.71:                               ;   in Loop: Header=BB34_3 Depth=1
	v_and_b32_e32 v2, 0x80000000, v2
	v_lshlrev_b32_e32 v3, 13, v3
                                        ; implicit-def: $vgpr70
	s_delay_alu instid0(VALU_DEP_1)
	v_or3_b32 v69, v3, v2, 0x7f800000
                                        ; implicit-def: $vgpr3
                                        ; implicit-def: $vgpr2
; %bb.72:                               ;   in Loop: Header=BB34_3 Depth=1
	s_and_not1_saveexec_b32 s35, s35
	s_cbranch_execz .LBB34_82
; %bb.73:                               ;   in Loop: Header=BB34_3 Depth=1
	v_and_b32_e32 v71, 0x3ff, v3
	s_mov_b32 s36, exec_lo
                                        ; implicit-def: $vgpr69
	v_cmpx_ne_u32_e32 0, v70
	s_xor_b32 s36, exec_lo, s36
; %bb.74:                               ;   in Loop: Header=BB34_3 Depth=1
	v_and_b32_e32 v2, 0x80000000, v2
	v_lshlrev_b32_e32 v3, 23, v70
	v_lshlrev_b32_e32 v69, 13, v71
                                        ; implicit-def: $vgpr71
	s_delay_alu instid0(VALU_DEP_1) | instskip(NEXT) | instid1(VALU_DEP_1)
	v_or3_b32 v2, v3, v2, v69
                                        ; implicit-def: $vgpr3
	v_add_nc_u32_e32 v69, 0x38000000, v2
                                        ; implicit-def: $vgpr2
; %bb.75:                               ;   in Loop: Header=BB34_3 Depth=1
	s_and_not1_saveexec_b32 s36, s36
	s_cbranch_execz .LBB34_81
; %bb.76:                               ;   in Loop: Header=BB34_3 Depth=1
	s_mov_b32 s37, exec_lo
                                        ; implicit-def: $vgpr69
	v_cmpx_ne_u32_e32 0, v71
	s_xor_b32 s37, exec_lo, s37
; %bb.77:                               ;   in Loop: Header=BB34_3 Depth=1
	v_clz_i32_u32_e32 v69, v71
	s_delay_alu instid0(VALU_DEP_1) | instskip(SKIP_1) | instid1(VALU_DEP_2)
	v_xor_b32_e32 v70, 31, v69
	v_lshlrev_b32_e32 v69, 23, v69
	v_sub_nc_u32_e32 v70, 9, v70
	s_delay_alu instid0(VALU_DEP_1) | instskip(NEXT) | instid1(VALU_DEP_1)
	v_lshlrev_b32_e32 v3, v70, v3
	v_lshlrev_b32_e32 v3, 14, v3
	s_delay_alu instid0(VALU_DEP_1) | instskip(NEXT) | instid1(VALU_DEP_1)
	v_and_b32_e32 v3, 0x7fc000, v3
	v_and_or_b32 v2, 0x80000000, v2, v3
	s_delay_alu instid0(VALU_DEP_1) | instskip(NEXT) | instid1(VALU_DEP_1)
	v_sub_nc_u32_e32 v2, v2, v69
	v_add_nc_u32_e32 v69, 0x43000000, v2
                                        ; implicit-def: $vgpr2
; %bb.78:                               ;   in Loop: Header=BB34_3 Depth=1
	s_and_not1_saveexec_b32 s37, s37
; %bb.79:                               ;   in Loop: Header=BB34_3 Depth=1
	v_and_b32_e32 v69, 0x80000000, v2
; %bb.80:                               ;   in Loop: Header=BB34_3 Depth=1
	s_or_b32 exec_lo, exec_lo, s37
.LBB34_81:                              ;   in Loop: Header=BB34_3 Depth=1
	s_delay_alu instid0(SALU_CYCLE_1)
	s_or_b32 exec_lo, exec_lo, s36
.LBB34_82:                              ;   in Loop: Header=BB34_3 Depth=1
	s_delay_alu instid0(SALU_CYCLE_1)
	s_or_b32 exec_lo, exec_lo, s35
	v_add_co_u32 v2, vcc_lo, v0, s23
	v_add_co_ci_u32_e32 v3, vcc_lo, 0, v1, vcc_lo
	s_and_not1_b32 vcc_lo, exec_lo, s26
	s_cbranch_vccnz .LBB34_84
; %bb.83:                               ;   in Loop: Header=BB34_3 Depth=1
	s_clause 0x2
	global_load_u8 v70, v[2:3], off
	global_load_u8 v71, v[2:3], off offset:4
	global_load_u8 v72, v[2:3], off offset:8
	s_waitcnt vmcnt(2)
	v_lshrrev_b16 v70, 2, v70
	s_waitcnt vmcnt(1)
	v_lshrrev_b16 v71, 2, v71
	s_waitcnt vmcnt(0)
	v_and_b32_e32 v73, 15, v72
	v_lshrrev_b16 v72, 4, v72
	v_and_b32_e32 v70, 48, v70
	v_and_b32_e32 v74, 48, v71
	s_delay_alu instid0(VALU_DEP_2) | instskip(NEXT) | instid1(VALU_DEP_2)
	v_or_b32_e32 v71, v70, v73
	v_or_b32_e32 v70, v74, v72
	s_cbranch_execz .LBB34_85
	s_branch .LBB34_86
.LBB34_84:                              ;   in Loop: Header=BB34_3 Depth=1
                                        ; implicit-def: $vgpr70
                                        ; implicit-def: $vgpr71
.LBB34_85:                              ;   in Loop: Header=BB34_3 Depth=1
	s_clause 0x1
	global_load_u8 v70, v[2:3], off offset:4
	global_load_u8 v2, v[2:3], off offset:8
	s_waitcnt vmcnt(1)
	v_and_b32_e32 v71, 63, v70
	s_waitcnt vmcnt(0)
	v_and_b32_e32 v70, 63, v2
.LBB34_86:                              ;   in Loop: Header=BB34_3 Depth=1
	v_add_co_u32 v0, vcc_lo, v0, v67
	v_add_co_ci_u32_e32 v1, vcc_lo, 0, v1, vcc_lo
	v_cvt_f32_ubyte0_e32 v2, v71
	global_load_u8 v0, v[0:1], off offset:16
	s_waitcnt vmcnt(0)
	v_dual_mul_f32 v2, v68, v2 :: v_dual_and_b32 v1, 15, v0
	v_lshrrev_b32_e32 v0, 4, v0
	s_delay_alu instid0(VALU_DEP_1) | instskip(SKIP_1) | instid1(VALU_DEP_2)
	v_cndmask_b32_e64 v0, v0, v1, s16
	v_cvt_f32_ubyte0_e32 v1, v70
	v_cvt_f32_ubyte0_e32 v0, v0
	s_delay_alu instid0(VALU_DEP_2) | instskip(NEXT) | instid1(VALU_DEP_1)
	v_mul_f32_e32 v1, v69, v1
	v_fma_f32 v0, v2, v0, -v1
.LBB34_87:                              ;   in Loop: Header=BB34_3 Depth=1
	s_or_b32 exec_lo, exec_lo, s34
	v_mov_b32_e32 v1, 0
	ds_store_b32 v31, v0
	s_and_saveexec_b32 s34, s3
	s_cbranch_execz .LBB34_115
; %bb.88:                               ;   in Loop: Header=BB34_3 Depth=1
	v_add_nc_u32_e32 v2, s27, v34
	s_mov_b32 s35, exec_lo
	s_delay_alu instid0(VALU_DEP_1) | instskip(SKIP_1) | instid1(VALU_DEP_1)
	v_mad_u64_u32 v[0:1], null, v2, 36, s[30:31]
	v_mov_b32_e32 v1, v50
	v_lshlrev_b64 v[0:1], 2, v[0:1]
	s_delay_alu instid0(VALU_DEP_1) | instskip(NEXT) | instid1(VALU_DEP_2)
	v_add_co_u32 v0, vcc_lo, s24, v0
	v_add_co_ci_u32_e32 v1, vcc_lo, s25, v1, vcc_lo
	global_load_b32 v2, v[0:1], off
	s_waitcnt vmcnt(0)
	v_bfe_u32 v3, v2, 15, 1
	v_bfe_u32 v69, v2, 10, 5
	s_delay_alu instid0(VALU_DEP_2) | instskip(NEXT) | instid1(VALU_DEP_2)
	v_lshlrev_b32_e32 v68, 31, v3
	v_cmpx_lt_i32_e32 30, v69
	s_xor_b32 s35, exec_lo, s35
; %bb.89:                               ;   in Loop: Header=BB34_3 Depth=1
	v_and_b32_e32 v68, 0xffff, v2
	v_lshlrev_b32_e32 v3, 31, v3
                                        ; implicit-def: $vgpr69
	s_delay_alu instid0(VALU_DEP_2) | instskip(NEXT) | instid1(VALU_DEP_1)
	v_lshlrev_b32_e32 v68, 13, v68
	v_or3_b32 v68, v3, v68, 0x7f800000
                                        ; implicit-def: $vgpr3
; %bb.90:                               ;   in Loop: Header=BB34_3 Depth=1
	s_and_not1_saveexec_b32 s35, s35
	s_cbranch_execz .LBB34_98
; %bb.91:                               ;   in Loop: Header=BB34_3 Depth=1
	v_and_b32_e32 v70, 0x3ff, v2
	s_mov_b32 s36, exec_lo
	v_cmpx_ne_u32_e32 0, v69
	s_xor_b32 s36, exec_lo, s36
; %bb.92:                               ;   in Loop: Header=BB34_3 Depth=1
	v_lshlrev_b32_e32 v3, 31, v3
	v_lshlrev_b32_e32 v68, 23, v69
	;; [unrolled: 1-line block ×3, first 2 shown]
                                        ; implicit-def: $vgpr70
	s_delay_alu instid0(VALU_DEP_1) | instskip(NEXT) | instid1(VALU_DEP_1)
	v_or3_b32 v3, v68, v3, v69
	v_add_nc_u32_e32 v68, 0x38000000, v3
                                        ; implicit-def: $vgpr3
; %bb.93:                               ;   in Loop: Header=BB34_3 Depth=1
	s_and_not1_saveexec_b32 s36, s36
	s_cbranch_execz .LBB34_97
; %bb.94:                               ;   in Loop: Header=BB34_3 Depth=1
	s_mov_b32 s37, exec_lo
	v_cmpx_ne_u32_e32 0, v70
	s_xor_b32 s37, exec_lo, s37
; %bb.95:                               ;   in Loop: Header=BB34_3 Depth=1
	v_clz_i32_u32_e32 v68, v70
	v_lshlrev_b32_e32 v3, 31, v3
	s_delay_alu instid0(VALU_DEP_2) | instskip(SKIP_1) | instid1(VALU_DEP_2)
	v_xor_b32_e32 v69, 31, v68
	v_lshlrev_b32_e32 v68, 23, v68
	v_sub_nc_u32_e32 v69, 9, v69
	s_delay_alu instid0(VALU_DEP_1) | instskip(NEXT) | instid1(VALU_DEP_1)
	v_lshlrev_b32_e32 v69, v69, v2
	v_lshlrev_b32_e32 v69, 14, v69
	s_delay_alu instid0(VALU_DEP_1) | instskip(NEXT) | instid1(VALU_DEP_1)
	v_and_or_b32 v3, 0x7fc000, v69, v3
	v_sub_nc_u32_e32 v3, v3, v68
	s_delay_alu instid0(VALU_DEP_1)
	v_add_nc_u32_e32 v68, 0x43000000, v3
; %bb.96:                               ;   in Loop: Header=BB34_3 Depth=1
	s_and_not1_saveexec_b32 s37, s37
	s_delay_alu instid0(SALU_CYCLE_1)
	s_or_b32 exec_lo, exec_lo, s37
.LBB34_97:                              ;   in Loop: Header=BB34_3 Depth=1
	s_delay_alu instid0(SALU_CYCLE_1)
	s_or_b32 exec_lo, exec_lo, s36
.LBB34_98:                              ;   in Loop: Header=BB34_3 Depth=1
	s_delay_alu instid0(SALU_CYCLE_1) | instskip(SKIP_3) | instid1(VALU_DEP_2)
	s_or_b32 exec_lo, exec_lo, s35
	v_bfe_u32 v70, v2, 26, 5
	v_lshrrev_b32_e32 v3, 16, v2
	s_mov_b32 s35, exec_lo
                                        ; implicit-def: $vgpr69
	v_cmpx_lt_i32_e32 30, v70
	s_xor_b32 s35, exec_lo, s35
; %bb.99:                               ;   in Loop: Header=BB34_3 Depth=1
	v_and_b32_e32 v2, 0x80000000, v2
	v_lshlrev_b32_e32 v3, 13, v3
                                        ; implicit-def: $vgpr70
	s_delay_alu instid0(VALU_DEP_1)
	v_or3_b32 v69, v3, v2, 0x7f800000
                                        ; implicit-def: $vgpr3
                                        ; implicit-def: $vgpr2
; %bb.100:                              ;   in Loop: Header=BB34_3 Depth=1
	s_and_not1_saveexec_b32 s35, s35
	s_cbranch_execz .LBB34_110
; %bb.101:                              ;   in Loop: Header=BB34_3 Depth=1
	v_and_b32_e32 v71, 0x3ff, v3
	s_mov_b32 s36, exec_lo
                                        ; implicit-def: $vgpr69
	v_cmpx_ne_u32_e32 0, v70
	s_xor_b32 s36, exec_lo, s36
; %bb.102:                              ;   in Loop: Header=BB34_3 Depth=1
	v_and_b32_e32 v2, 0x80000000, v2
	v_lshlrev_b32_e32 v3, 23, v70
	v_lshlrev_b32_e32 v69, 13, v71
                                        ; implicit-def: $vgpr71
	s_delay_alu instid0(VALU_DEP_1) | instskip(NEXT) | instid1(VALU_DEP_1)
	v_or3_b32 v2, v3, v2, v69
                                        ; implicit-def: $vgpr3
	v_add_nc_u32_e32 v69, 0x38000000, v2
                                        ; implicit-def: $vgpr2
; %bb.103:                              ;   in Loop: Header=BB34_3 Depth=1
	s_and_not1_saveexec_b32 s36, s36
	s_cbranch_execz .LBB34_109
; %bb.104:                              ;   in Loop: Header=BB34_3 Depth=1
	s_mov_b32 s37, exec_lo
                                        ; implicit-def: $vgpr69
	v_cmpx_ne_u32_e32 0, v71
	s_xor_b32 s37, exec_lo, s37
; %bb.105:                              ;   in Loop: Header=BB34_3 Depth=1
	v_clz_i32_u32_e32 v69, v71
	s_delay_alu instid0(VALU_DEP_1) | instskip(SKIP_1) | instid1(VALU_DEP_2)
	v_xor_b32_e32 v70, 31, v69
	v_lshlrev_b32_e32 v69, 23, v69
	v_sub_nc_u32_e32 v70, 9, v70
	s_delay_alu instid0(VALU_DEP_1) | instskip(NEXT) | instid1(VALU_DEP_1)
	v_lshlrev_b32_e32 v3, v70, v3
	v_lshlrev_b32_e32 v3, 14, v3
	s_delay_alu instid0(VALU_DEP_1) | instskip(NEXT) | instid1(VALU_DEP_1)
	v_and_b32_e32 v3, 0x7fc000, v3
	v_and_or_b32 v2, 0x80000000, v2, v3
	s_delay_alu instid0(VALU_DEP_1) | instskip(NEXT) | instid1(VALU_DEP_1)
	v_sub_nc_u32_e32 v2, v2, v69
	v_add_nc_u32_e32 v69, 0x43000000, v2
                                        ; implicit-def: $vgpr2
; %bb.106:                              ;   in Loop: Header=BB34_3 Depth=1
	s_and_not1_saveexec_b32 s37, s37
; %bb.107:                              ;   in Loop: Header=BB34_3 Depth=1
	v_and_b32_e32 v69, 0x80000000, v2
; %bb.108:                              ;   in Loop: Header=BB34_3 Depth=1
	s_or_b32 exec_lo, exec_lo, s37
.LBB34_109:                             ;   in Loop: Header=BB34_3 Depth=1
	s_delay_alu instid0(SALU_CYCLE_1)
	s_or_b32 exec_lo, exec_lo, s36
.LBB34_110:                             ;   in Loop: Header=BB34_3 Depth=1
	s_delay_alu instid0(SALU_CYCLE_1)
	s_or_b32 exec_lo, exec_lo, s35
	v_add_co_u32 v2, vcc_lo, v0, s23
	v_add_co_ci_u32_e32 v3, vcc_lo, 0, v1, vcc_lo
	s_and_not1_b32 vcc_lo, exec_lo, s26
	s_cbranch_vccnz .LBB34_112
; %bb.111:                              ;   in Loop: Header=BB34_3 Depth=1
	s_clause 0x2
	global_load_u8 v70, v[2:3], off
	global_load_u8 v71, v[2:3], off offset:4
	global_load_u8 v72, v[2:3], off offset:8
	s_waitcnt vmcnt(2)
	v_lshrrev_b16 v70, 2, v70
	s_waitcnt vmcnt(1)
	v_lshrrev_b16 v71, 2, v71
	s_waitcnt vmcnt(0)
	v_and_b32_e32 v73, 15, v72
	v_lshrrev_b16 v72, 4, v72
	v_and_b32_e32 v70, 48, v70
	v_and_b32_e32 v74, 48, v71
	s_delay_alu instid0(VALU_DEP_2) | instskip(NEXT) | instid1(VALU_DEP_2)
	v_or_b32_e32 v71, v70, v73
	v_or_b32_e32 v70, v74, v72
	s_cbranch_execz .LBB34_113
	s_branch .LBB34_114
.LBB34_112:                             ;   in Loop: Header=BB34_3 Depth=1
                                        ; implicit-def: $vgpr70
                                        ; implicit-def: $vgpr71
.LBB34_113:                             ;   in Loop: Header=BB34_3 Depth=1
	s_clause 0x1
	global_load_u8 v70, v[2:3], off offset:4
	global_load_u8 v2, v[2:3], off offset:8
	s_waitcnt vmcnt(1)
	v_and_b32_e32 v71, 63, v70
	s_waitcnt vmcnt(0)
	v_and_b32_e32 v70, 63, v2
.LBB34_114:                             ;   in Loop: Header=BB34_3 Depth=1
	v_add_co_u32 v0, vcc_lo, v0, v67
	v_add_co_ci_u32_e32 v1, vcc_lo, 0, v1, vcc_lo
	v_cvt_f32_ubyte0_e32 v2, v71
	global_load_u8 v0, v[0:1], off offset:16
	s_waitcnt vmcnt(0)
	v_dual_mul_f32 v2, v68, v2 :: v_dual_and_b32 v1, 15, v0
	v_lshrrev_b32_e32 v0, 4, v0
	s_delay_alu instid0(VALU_DEP_1) | instskip(SKIP_1) | instid1(VALU_DEP_2)
	v_cndmask_b32_e64 v0, v0, v1, s16
	v_cvt_f32_ubyte0_e32 v1, v70
	v_cvt_f32_ubyte0_e32 v0, v0
	s_delay_alu instid0(VALU_DEP_2) | instskip(NEXT) | instid1(VALU_DEP_1)
	v_mul_f32_e32 v1, v69, v1
	v_fma_f32 v1, v2, v0, -v1
.LBB34_115:                             ;   in Loop: Header=BB34_3 Depth=1
	s_or_b32 exec_lo, exec_lo, s34
	v_mov_b32_e32 v0, 0
	ds_store_b32 v35, v1
	s_and_saveexec_b32 s34, s4
	s_cbranch_execz .LBB34_143
; %bb.116:                              ;   in Loop: Header=BB34_3 Depth=1
	v_add_nc_u32_e32 v2, s27, v36
	s_mov_b32 s35, exec_lo
	s_delay_alu instid0(VALU_DEP_1) | instskip(SKIP_1) | instid1(VALU_DEP_1)
	v_mad_u64_u32 v[0:1], null, v2, 36, s[30:31]
	v_mov_b32_e32 v1, v50
	v_lshlrev_b64 v[0:1], 2, v[0:1]
	s_delay_alu instid0(VALU_DEP_1) | instskip(NEXT) | instid1(VALU_DEP_2)
	v_add_co_u32 v0, vcc_lo, s24, v0
	v_add_co_ci_u32_e32 v1, vcc_lo, s25, v1, vcc_lo
	global_load_b32 v2, v[0:1], off
	s_waitcnt vmcnt(0)
	v_bfe_u32 v3, v2, 15, 1
	v_bfe_u32 v69, v2, 10, 5
	s_delay_alu instid0(VALU_DEP_2) | instskip(NEXT) | instid1(VALU_DEP_2)
	v_lshlrev_b32_e32 v68, 31, v3
	v_cmpx_lt_i32_e32 30, v69
	s_xor_b32 s35, exec_lo, s35
; %bb.117:                              ;   in Loop: Header=BB34_3 Depth=1
	v_and_b32_e32 v68, 0xffff, v2
	v_lshlrev_b32_e32 v3, 31, v3
                                        ; implicit-def: $vgpr69
	s_delay_alu instid0(VALU_DEP_2) | instskip(NEXT) | instid1(VALU_DEP_1)
	v_lshlrev_b32_e32 v68, 13, v68
	v_or3_b32 v68, v3, v68, 0x7f800000
                                        ; implicit-def: $vgpr3
; %bb.118:                              ;   in Loop: Header=BB34_3 Depth=1
	s_and_not1_saveexec_b32 s35, s35
	s_cbranch_execz .LBB34_126
; %bb.119:                              ;   in Loop: Header=BB34_3 Depth=1
	v_and_b32_e32 v70, 0x3ff, v2
	s_mov_b32 s36, exec_lo
	v_cmpx_ne_u32_e32 0, v69
	s_xor_b32 s36, exec_lo, s36
; %bb.120:                              ;   in Loop: Header=BB34_3 Depth=1
	v_lshlrev_b32_e32 v3, 31, v3
	v_lshlrev_b32_e32 v68, 23, v69
	;; [unrolled: 1-line block ×3, first 2 shown]
                                        ; implicit-def: $vgpr70
	s_delay_alu instid0(VALU_DEP_1) | instskip(NEXT) | instid1(VALU_DEP_1)
	v_or3_b32 v3, v68, v3, v69
	v_add_nc_u32_e32 v68, 0x38000000, v3
                                        ; implicit-def: $vgpr3
; %bb.121:                              ;   in Loop: Header=BB34_3 Depth=1
	s_and_not1_saveexec_b32 s36, s36
	s_cbranch_execz .LBB34_125
; %bb.122:                              ;   in Loop: Header=BB34_3 Depth=1
	s_mov_b32 s37, exec_lo
	v_cmpx_ne_u32_e32 0, v70
	s_xor_b32 s37, exec_lo, s37
; %bb.123:                              ;   in Loop: Header=BB34_3 Depth=1
	v_clz_i32_u32_e32 v68, v70
	v_lshlrev_b32_e32 v3, 31, v3
	s_delay_alu instid0(VALU_DEP_2) | instskip(SKIP_1) | instid1(VALU_DEP_2)
	v_xor_b32_e32 v69, 31, v68
	v_lshlrev_b32_e32 v68, 23, v68
	v_sub_nc_u32_e32 v69, 9, v69
	s_delay_alu instid0(VALU_DEP_1) | instskip(NEXT) | instid1(VALU_DEP_1)
	v_lshlrev_b32_e32 v69, v69, v2
	v_lshlrev_b32_e32 v69, 14, v69
	s_delay_alu instid0(VALU_DEP_1) | instskip(NEXT) | instid1(VALU_DEP_1)
	v_and_or_b32 v3, 0x7fc000, v69, v3
	v_sub_nc_u32_e32 v3, v3, v68
	s_delay_alu instid0(VALU_DEP_1)
	v_add_nc_u32_e32 v68, 0x43000000, v3
; %bb.124:                              ;   in Loop: Header=BB34_3 Depth=1
	s_and_not1_saveexec_b32 s37, s37
	s_delay_alu instid0(SALU_CYCLE_1)
	s_or_b32 exec_lo, exec_lo, s37
.LBB34_125:                             ;   in Loop: Header=BB34_3 Depth=1
	s_delay_alu instid0(SALU_CYCLE_1)
	s_or_b32 exec_lo, exec_lo, s36
.LBB34_126:                             ;   in Loop: Header=BB34_3 Depth=1
	s_delay_alu instid0(SALU_CYCLE_1) | instskip(SKIP_3) | instid1(VALU_DEP_2)
	s_or_b32 exec_lo, exec_lo, s35
	v_bfe_u32 v70, v2, 26, 5
	v_lshrrev_b32_e32 v3, 16, v2
	s_mov_b32 s35, exec_lo
                                        ; implicit-def: $vgpr69
	v_cmpx_lt_i32_e32 30, v70
	s_xor_b32 s35, exec_lo, s35
; %bb.127:                              ;   in Loop: Header=BB34_3 Depth=1
	v_and_b32_e32 v2, 0x80000000, v2
	v_lshlrev_b32_e32 v3, 13, v3
                                        ; implicit-def: $vgpr70
	s_delay_alu instid0(VALU_DEP_1)
	v_or3_b32 v69, v3, v2, 0x7f800000
                                        ; implicit-def: $vgpr3
                                        ; implicit-def: $vgpr2
; %bb.128:                              ;   in Loop: Header=BB34_3 Depth=1
	s_and_not1_saveexec_b32 s35, s35
	s_cbranch_execz .LBB34_138
; %bb.129:                              ;   in Loop: Header=BB34_3 Depth=1
	v_and_b32_e32 v71, 0x3ff, v3
	s_mov_b32 s36, exec_lo
                                        ; implicit-def: $vgpr69
	v_cmpx_ne_u32_e32 0, v70
	s_xor_b32 s36, exec_lo, s36
; %bb.130:                              ;   in Loop: Header=BB34_3 Depth=1
	v_and_b32_e32 v2, 0x80000000, v2
	v_lshlrev_b32_e32 v3, 23, v70
	v_lshlrev_b32_e32 v69, 13, v71
                                        ; implicit-def: $vgpr71
	s_delay_alu instid0(VALU_DEP_1) | instskip(NEXT) | instid1(VALU_DEP_1)
	v_or3_b32 v2, v3, v2, v69
                                        ; implicit-def: $vgpr3
	v_add_nc_u32_e32 v69, 0x38000000, v2
                                        ; implicit-def: $vgpr2
; %bb.131:                              ;   in Loop: Header=BB34_3 Depth=1
	s_and_not1_saveexec_b32 s36, s36
	s_cbranch_execz .LBB34_137
; %bb.132:                              ;   in Loop: Header=BB34_3 Depth=1
	s_mov_b32 s37, exec_lo
                                        ; implicit-def: $vgpr69
	v_cmpx_ne_u32_e32 0, v71
	s_xor_b32 s37, exec_lo, s37
; %bb.133:                              ;   in Loop: Header=BB34_3 Depth=1
	v_clz_i32_u32_e32 v69, v71
	s_delay_alu instid0(VALU_DEP_1) | instskip(SKIP_1) | instid1(VALU_DEP_2)
	v_xor_b32_e32 v70, 31, v69
	v_lshlrev_b32_e32 v69, 23, v69
	v_sub_nc_u32_e32 v70, 9, v70
	s_delay_alu instid0(VALU_DEP_1) | instskip(NEXT) | instid1(VALU_DEP_1)
	v_lshlrev_b32_e32 v3, v70, v3
	v_lshlrev_b32_e32 v3, 14, v3
	s_delay_alu instid0(VALU_DEP_1) | instskip(NEXT) | instid1(VALU_DEP_1)
	v_and_b32_e32 v3, 0x7fc000, v3
	v_and_or_b32 v2, 0x80000000, v2, v3
	s_delay_alu instid0(VALU_DEP_1) | instskip(NEXT) | instid1(VALU_DEP_1)
	v_sub_nc_u32_e32 v2, v2, v69
	v_add_nc_u32_e32 v69, 0x43000000, v2
                                        ; implicit-def: $vgpr2
; %bb.134:                              ;   in Loop: Header=BB34_3 Depth=1
	s_and_not1_saveexec_b32 s37, s37
; %bb.135:                              ;   in Loop: Header=BB34_3 Depth=1
	v_and_b32_e32 v69, 0x80000000, v2
; %bb.136:                              ;   in Loop: Header=BB34_3 Depth=1
	s_or_b32 exec_lo, exec_lo, s37
.LBB34_137:                             ;   in Loop: Header=BB34_3 Depth=1
	s_delay_alu instid0(SALU_CYCLE_1)
	s_or_b32 exec_lo, exec_lo, s36
.LBB34_138:                             ;   in Loop: Header=BB34_3 Depth=1
	s_delay_alu instid0(SALU_CYCLE_1)
	s_or_b32 exec_lo, exec_lo, s35
	v_add_co_u32 v2, vcc_lo, v0, s23
	v_add_co_ci_u32_e32 v3, vcc_lo, 0, v1, vcc_lo
	s_and_not1_b32 vcc_lo, exec_lo, s26
	s_cbranch_vccnz .LBB34_140
; %bb.139:                              ;   in Loop: Header=BB34_3 Depth=1
	s_clause 0x2
	global_load_u8 v70, v[2:3], off
	global_load_u8 v71, v[2:3], off offset:4
	global_load_u8 v72, v[2:3], off offset:8
	s_waitcnt vmcnt(2)
	v_lshrrev_b16 v70, 2, v70
	s_waitcnt vmcnt(1)
	v_lshrrev_b16 v71, 2, v71
	s_waitcnt vmcnt(0)
	v_and_b32_e32 v73, 15, v72
	v_lshrrev_b16 v72, 4, v72
	v_and_b32_e32 v70, 48, v70
	v_and_b32_e32 v74, 48, v71
	s_delay_alu instid0(VALU_DEP_2) | instskip(NEXT) | instid1(VALU_DEP_2)
	v_or_b32_e32 v71, v70, v73
	v_or_b32_e32 v70, v74, v72
	s_cbranch_execz .LBB34_141
	s_branch .LBB34_142
.LBB34_140:                             ;   in Loop: Header=BB34_3 Depth=1
                                        ; implicit-def: $vgpr70
                                        ; implicit-def: $vgpr71
.LBB34_141:                             ;   in Loop: Header=BB34_3 Depth=1
	s_clause 0x1
	global_load_u8 v70, v[2:3], off offset:4
	global_load_u8 v2, v[2:3], off offset:8
	s_waitcnt vmcnt(1)
	v_and_b32_e32 v71, 63, v70
	s_waitcnt vmcnt(0)
	v_and_b32_e32 v70, 63, v2
.LBB34_142:                             ;   in Loop: Header=BB34_3 Depth=1
	v_add_co_u32 v0, vcc_lo, v0, v67
	v_add_co_ci_u32_e32 v1, vcc_lo, 0, v1, vcc_lo
	v_cvt_f32_ubyte0_e32 v2, v71
	global_load_u8 v0, v[0:1], off offset:16
	s_waitcnt vmcnt(0)
	v_dual_mul_f32 v2, v68, v2 :: v_dual_and_b32 v1, 15, v0
	v_lshrrev_b32_e32 v0, 4, v0
	s_delay_alu instid0(VALU_DEP_1) | instskip(SKIP_1) | instid1(VALU_DEP_2)
	v_cndmask_b32_e64 v0, v0, v1, s16
	v_cvt_f32_ubyte0_e32 v1, v70
	v_cvt_f32_ubyte0_e32 v0, v0
	s_delay_alu instid0(VALU_DEP_2) | instskip(NEXT) | instid1(VALU_DEP_1)
	v_mul_f32_e32 v1, v69, v1
	v_fma_f32 v0, v2, v0, -v1
.LBB34_143:                             ;   in Loop: Header=BB34_3 Depth=1
	s_or_b32 exec_lo, exec_lo, s34
	v_mov_b32_e32 v1, 0
	ds_store_b32 v25, v0 offset:128
	s_and_saveexec_b32 s34, s5
	s_cbranch_execz .LBB34_171
; %bb.144:                              ;   in Loop: Header=BB34_3 Depth=1
	v_add_nc_u32_e32 v2, s27, v38
	s_mov_b32 s35, exec_lo
	s_delay_alu instid0(VALU_DEP_1) | instskip(SKIP_1) | instid1(VALU_DEP_1)
	v_mad_u64_u32 v[0:1], null, v2, 36, s[30:31]
	v_mov_b32_e32 v1, v50
	v_lshlrev_b64 v[0:1], 2, v[0:1]
	s_delay_alu instid0(VALU_DEP_1) | instskip(NEXT) | instid1(VALU_DEP_2)
	v_add_co_u32 v0, vcc_lo, s24, v0
	v_add_co_ci_u32_e32 v1, vcc_lo, s25, v1, vcc_lo
	global_load_b32 v2, v[0:1], off
	s_waitcnt vmcnt(0)
	v_bfe_u32 v3, v2, 15, 1
	v_bfe_u32 v69, v2, 10, 5
	s_delay_alu instid0(VALU_DEP_2) | instskip(NEXT) | instid1(VALU_DEP_2)
	v_lshlrev_b32_e32 v68, 31, v3
	v_cmpx_lt_i32_e32 30, v69
	s_xor_b32 s35, exec_lo, s35
; %bb.145:                              ;   in Loop: Header=BB34_3 Depth=1
	v_and_b32_e32 v68, 0xffff, v2
	v_lshlrev_b32_e32 v3, 31, v3
                                        ; implicit-def: $vgpr69
	s_delay_alu instid0(VALU_DEP_2) | instskip(NEXT) | instid1(VALU_DEP_1)
	v_lshlrev_b32_e32 v68, 13, v68
	v_or3_b32 v68, v3, v68, 0x7f800000
                                        ; implicit-def: $vgpr3
; %bb.146:                              ;   in Loop: Header=BB34_3 Depth=1
	s_and_not1_saveexec_b32 s35, s35
	s_cbranch_execz .LBB34_154
; %bb.147:                              ;   in Loop: Header=BB34_3 Depth=1
	v_and_b32_e32 v70, 0x3ff, v2
	s_mov_b32 s36, exec_lo
	v_cmpx_ne_u32_e32 0, v69
	s_xor_b32 s36, exec_lo, s36
; %bb.148:                              ;   in Loop: Header=BB34_3 Depth=1
	v_lshlrev_b32_e32 v3, 31, v3
	v_lshlrev_b32_e32 v68, 23, v69
	;; [unrolled: 1-line block ×3, first 2 shown]
                                        ; implicit-def: $vgpr70
	s_delay_alu instid0(VALU_DEP_1) | instskip(NEXT) | instid1(VALU_DEP_1)
	v_or3_b32 v3, v68, v3, v69
	v_add_nc_u32_e32 v68, 0x38000000, v3
                                        ; implicit-def: $vgpr3
; %bb.149:                              ;   in Loop: Header=BB34_3 Depth=1
	s_and_not1_saveexec_b32 s36, s36
	s_cbranch_execz .LBB34_153
; %bb.150:                              ;   in Loop: Header=BB34_3 Depth=1
	s_mov_b32 s37, exec_lo
	v_cmpx_ne_u32_e32 0, v70
	s_xor_b32 s37, exec_lo, s37
; %bb.151:                              ;   in Loop: Header=BB34_3 Depth=1
	v_clz_i32_u32_e32 v68, v70
	v_lshlrev_b32_e32 v3, 31, v3
	s_delay_alu instid0(VALU_DEP_2) | instskip(SKIP_1) | instid1(VALU_DEP_2)
	v_xor_b32_e32 v69, 31, v68
	v_lshlrev_b32_e32 v68, 23, v68
	v_sub_nc_u32_e32 v69, 9, v69
	s_delay_alu instid0(VALU_DEP_1) | instskip(NEXT) | instid1(VALU_DEP_1)
	v_lshlrev_b32_e32 v69, v69, v2
	v_lshlrev_b32_e32 v69, 14, v69
	s_delay_alu instid0(VALU_DEP_1) | instskip(NEXT) | instid1(VALU_DEP_1)
	v_and_or_b32 v3, 0x7fc000, v69, v3
	v_sub_nc_u32_e32 v3, v3, v68
	s_delay_alu instid0(VALU_DEP_1)
	v_add_nc_u32_e32 v68, 0x43000000, v3
; %bb.152:                              ;   in Loop: Header=BB34_3 Depth=1
	s_and_not1_saveexec_b32 s37, s37
	s_delay_alu instid0(SALU_CYCLE_1)
	s_or_b32 exec_lo, exec_lo, s37
.LBB34_153:                             ;   in Loop: Header=BB34_3 Depth=1
	s_delay_alu instid0(SALU_CYCLE_1)
	s_or_b32 exec_lo, exec_lo, s36
.LBB34_154:                             ;   in Loop: Header=BB34_3 Depth=1
	s_delay_alu instid0(SALU_CYCLE_1) | instskip(SKIP_3) | instid1(VALU_DEP_2)
	s_or_b32 exec_lo, exec_lo, s35
	v_bfe_u32 v70, v2, 26, 5
	v_lshrrev_b32_e32 v3, 16, v2
	s_mov_b32 s35, exec_lo
                                        ; implicit-def: $vgpr69
	v_cmpx_lt_i32_e32 30, v70
	s_xor_b32 s35, exec_lo, s35
; %bb.155:                              ;   in Loop: Header=BB34_3 Depth=1
	v_and_b32_e32 v2, 0x80000000, v2
	v_lshlrev_b32_e32 v3, 13, v3
                                        ; implicit-def: $vgpr70
	s_delay_alu instid0(VALU_DEP_1)
	v_or3_b32 v69, v3, v2, 0x7f800000
                                        ; implicit-def: $vgpr3
                                        ; implicit-def: $vgpr2
; %bb.156:                              ;   in Loop: Header=BB34_3 Depth=1
	s_and_not1_saveexec_b32 s35, s35
	s_cbranch_execz .LBB34_166
; %bb.157:                              ;   in Loop: Header=BB34_3 Depth=1
	v_and_b32_e32 v71, 0x3ff, v3
	s_mov_b32 s36, exec_lo
                                        ; implicit-def: $vgpr69
	v_cmpx_ne_u32_e32 0, v70
	s_xor_b32 s36, exec_lo, s36
; %bb.158:                              ;   in Loop: Header=BB34_3 Depth=1
	v_and_b32_e32 v2, 0x80000000, v2
	v_lshlrev_b32_e32 v3, 23, v70
	v_lshlrev_b32_e32 v69, 13, v71
                                        ; implicit-def: $vgpr71
	s_delay_alu instid0(VALU_DEP_1) | instskip(NEXT) | instid1(VALU_DEP_1)
	v_or3_b32 v2, v3, v2, v69
                                        ; implicit-def: $vgpr3
	v_add_nc_u32_e32 v69, 0x38000000, v2
                                        ; implicit-def: $vgpr2
; %bb.159:                              ;   in Loop: Header=BB34_3 Depth=1
	s_and_not1_saveexec_b32 s36, s36
	s_cbranch_execz .LBB34_165
; %bb.160:                              ;   in Loop: Header=BB34_3 Depth=1
	s_mov_b32 s37, exec_lo
                                        ; implicit-def: $vgpr69
	v_cmpx_ne_u32_e32 0, v71
	s_xor_b32 s37, exec_lo, s37
; %bb.161:                              ;   in Loop: Header=BB34_3 Depth=1
	v_clz_i32_u32_e32 v69, v71
	s_delay_alu instid0(VALU_DEP_1) | instskip(SKIP_1) | instid1(VALU_DEP_2)
	v_xor_b32_e32 v70, 31, v69
	v_lshlrev_b32_e32 v69, 23, v69
	v_sub_nc_u32_e32 v70, 9, v70
	s_delay_alu instid0(VALU_DEP_1) | instskip(NEXT) | instid1(VALU_DEP_1)
	v_lshlrev_b32_e32 v3, v70, v3
	v_lshlrev_b32_e32 v3, 14, v3
	s_delay_alu instid0(VALU_DEP_1) | instskip(NEXT) | instid1(VALU_DEP_1)
	v_and_b32_e32 v3, 0x7fc000, v3
	v_and_or_b32 v2, 0x80000000, v2, v3
	s_delay_alu instid0(VALU_DEP_1) | instskip(NEXT) | instid1(VALU_DEP_1)
	v_sub_nc_u32_e32 v2, v2, v69
	v_add_nc_u32_e32 v69, 0x43000000, v2
                                        ; implicit-def: $vgpr2
; %bb.162:                              ;   in Loop: Header=BB34_3 Depth=1
	s_and_not1_saveexec_b32 s37, s37
; %bb.163:                              ;   in Loop: Header=BB34_3 Depth=1
	v_and_b32_e32 v69, 0x80000000, v2
; %bb.164:                              ;   in Loop: Header=BB34_3 Depth=1
	s_or_b32 exec_lo, exec_lo, s37
.LBB34_165:                             ;   in Loop: Header=BB34_3 Depth=1
	s_delay_alu instid0(SALU_CYCLE_1)
	s_or_b32 exec_lo, exec_lo, s36
.LBB34_166:                             ;   in Loop: Header=BB34_3 Depth=1
	s_delay_alu instid0(SALU_CYCLE_1)
	s_or_b32 exec_lo, exec_lo, s35
	v_add_co_u32 v2, vcc_lo, v0, s23
	v_add_co_ci_u32_e32 v3, vcc_lo, 0, v1, vcc_lo
	s_and_not1_b32 vcc_lo, exec_lo, s26
	s_cbranch_vccnz .LBB34_168
; %bb.167:                              ;   in Loop: Header=BB34_3 Depth=1
	s_clause 0x2
	global_load_u8 v70, v[2:3], off
	global_load_u8 v71, v[2:3], off offset:4
	global_load_u8 v72, v[2:3], off offset:8
	s_waitcnt vmcnt(2)
	v_lshrrev_b16 v70, 2, v70
	s_waitcnt vmcnt(1)
	v_lshrrev_b16 v71, 2, v71
	s_waitcnt vmcnt(0)
	v_and_b32_e32 v73, 15, v72
	v_lshrrev_b16 v72, 4, v72
	v_and_b32_e32 v70, 48, v70
	v_and_b32_e32 v74, 48, v71
	s_delay_alu instid0(VALU_DEP_2) | instskip(NEXT) | instid1(VALU_DEP_2)
	v_or_b32_e32 v71, v70, v73
	v_or_b32_e32 v70, v74, v72
	s_cbranch_execz .LBB34_169
	s_branch .LBB34_170
.LBB34_168:                             ;   in Loop: Header=BB34_3 Depth=1
                                        ; implicit-def: $vgpr70
                                        ; implicit-def: $vgpr71
.LBB34_169:                             ;   in Loop: Header=BB34_3 Depth=1
	s_clause 0x1
	global_load_u8 v70, v[2:3], off offset:4
	global_load_u8 v2, v[2:3], off offset:8
	s_waitcnt vmcnt(1)
	v_and_b32_e32 v71, 63, v70
	s_waitcnt vmcnt(0)
	v_and_b32_e32 v70, 63, v2
.LBB34_170:                             ;   in Loop: Header=BB34_3 Depth=1
	v_add_co_u32 v0, vcc_lo, v0, v67
	v_add_co_ci_u32_e32 v1, vcc_lo, 0, v1, vcc_lo
	v_cvt_f32_ubyte0_e32 v2, v71
	global_load_u8 v0, v[0:1], off offset:16
	s_waitcnt vmcnt(0)
	v_dual_mul_f32 v2, v68, v2 :: v_dual_and_b32 v1, 15, v0
	v_lshrrev_b32_e32 v0, 4, v0
	s_delay_alu instid0(VALU_DEP_1) | instskip(SKIP_1) | instid1(VALU_DEP_2)
	v_cndmask_b32_e64 v0, v0, v1, s16
	v_cvt_f32_ubyte0_e32 v1, v70
	v_cvt_f32_ubyte0_e32 v0, v0
	s_delay_alu instid0(VALU_DEP_2) | instskip(NEXT) | instid1(VALU_DEP_1)
	v_mul_f32_e32 v1, v69, v1
	v_fma_f32 v1, v2, v0, -v1
.LBB34_171:                             ;   in Loop: Header=BB34_3 Depth=1
	s_or_b32 exec_lo, exec_lo, s34
	v_mov_b32_e32 v0, 0
	ds_store_b32 v40, v1
	s_and_saveexec_b32 s34, s6
	s_cbranch_execz .LBB34_199
; %bb.172:                              ;   in Loop: Header=BB34_3 Depth=1
	v_add_nc_u32_e32 v2, s27, v41
	s_mov_b32 s35, exec_lo
	s_delay_alu instid0(VALU_DEP_1) | instskip(SKIP_1) | instid1(VALU_DEP_1)
	v_mad_u64_u32 v[0:1], null, v2, 36, s[30:31]
	v_mov_b32_e32 v1, v50
	v_lshlrev_b64 v[0:1], 2, v[0:1]
	s_delay_alu instid0(VALU_DEP_1) | instskip(NEXT) | instid1(VALU_DEP_2)
	v_add_co_u32 v0, vcc_lo, s24, v0
	v_add_co_ci_u32_e32 v1, vcc_lo, s25, v1, vcc_lo
	global_load_b32 v2, v[0:1], off
	s_waitcnt vmcnt(0)
	v_bfe_u32 v3, v2, 15, 1
	v_bfe_u32 v69, v2, 10, 5
	s_delay_alu instid0(VALU_DEP_2) | instskip(NEXT) | instid1(VALU_DEP_2)
	v_lshlrev_b32_e32 v68, 31, v3
	v_cmpx_lt_i32_e32 30, v69
	s_xor_b32 s35, exec_lo, s35
; %bb.173:                              ;   in Loop: Header=BB34_3 Depth=1
	v_and_b32_e32 v68, 0xffff, v2
	v_lshlrev_b32_e32 v3, 31, v3
                                        ; implicit-def: $vgpr69
	s_delay_alu instid0(VALU_DEP_2) | instskip(NEXT) | instid1(VALU_DEP_1)
	v_lshlrev_b32_e32 v68, 13, v68
	v_or3_b32 v68, v3, v68, 0x7f800000
                                        ; implicit-def: $vgpr3
; %bb.174:                              ;   in Loop: Header=BB34_3 Depth=1
	s_and_not1_saveexec_b32 s35, s35
	s_cbranch_execz .LBB34_182
; %bb.175:                              ;   in Loop: Header=BB34_3 Depth=1
	v_and_b32_e32 v70, 0x3ff, v2
	s_mov_b32 s36, exec_lo
	v_cmpx_ne_u32_e32 0, v69
	s_xor_b32 s36, exec_lo, s36
; %bb.176:                              ;   in Loop: Header=BB34_3 Depth=1
	v_lshlrev_b32_e32 v3, 31, v3
	v_lshlrev_b32_e32 v68, 23, v69
	;; [unrolled: 1-line block ×3, first 2 shown]
                                        ; implicit-def: $vgpr70
	s_delay_alu instid0(VALU_DEP_1) | instskip(NEXT) | instid1(VALU_DEP_1)
	v_or3_b32 v3, v68, v3, v69
	v_add_nc_u32_e32 v68, 0x38000000, v3
                                        ; implicit-def: $vgpr3
; %bb.177:                              ;   in Loop: Header=BB34_3 Depth=1
	s_and_not1_saveexec_b32 s36, s36
	s_cbranch_execz .LBB34_181
; %bb.178:                              ;   in Loop: Header=BB34_3 Depth=1
	s_mov_b32 s37, exec_lo
	v_cmpx_ne_u32_e32 0, v70
	s_xor_b32 s37, exec_lo, s37
; %bb.179:                              ;   in Loop: Header=BB34_3 Depth=1
	v_clz_i32_u32_e32 v68, v70
	v_lshlrev_b32_e32 v3, 31, v3
	s_delay_alu instid0(VALU_DEP_2) | instskip(SKIP_1) | instid1(VALU_DEP_2)
	v_xor_b32_e32 v69, 31, v68
	v_lshlrev_b32_e32 v68, 23, v68
	v_sub_nc_u32_e32 v69, 9, v69
	s_delay_alu instid0(VALU_DEP_1) | instskip(NEXT) | instid1(VALU_DEP_1)
	v_lshlrev_b32_e32 v69, v69, v2
	v_lshlrev_b32_e32 v69, 14, v69
	s_delay_alu instid0(VALU_DEP_1) | instskip(NEXT) | instid1(VALU_DEP_1)
	v_and_or_b32 v3, 0x7fc000, v69, v3
	v_sub_nc_u32_e32 v3, v3, v68
	s_delay_alu instid0(VALU_DEP_1)
	v_add_nc_u32_e32 v68, 0x43000000, v3
; %bb.180:                              ;   in Loop: Header=BB34_3 Depth=1
	s_and_not1_saveexec_b32 s37, s37
	s_delay_alu instid0(SALU_CYCLE_1)
	s_or_b32 exec_lo, exec_lo, s37
.LBB34_181:                             ;   in Loop: Header=BB34_3 Depth=1
	s_delay_alu instid0(SALU_CYCLE_1)
	s_or_b32 exec_lo, exec_lo, s36
.LBB34_182:                             ;   in Loop: Header=BB34_3 Depth=1
	s_delay_alu instid0(SALU_CYCLE_1) | instskip(SKIP_3) | instid1(VALU_DEP_2)
	s_or_b32 exec_lo, exec_lo, s35
	v_bfe_u32 v70, v2, 26, 5
	v_lshrrev_b32_e32 v3, 16, v2
	s_mov_b32 s35, exec_lo
                                        ; implicit-def: $vgpr69
	v_cmpx_lt_i32_e32 30, v70
	s_xor_b32 s35, exec_lo, s35
; %bb.183:                              ;   in Loop: Header=BB34_3 Depth=1
	v_and_b32_e32 v2, 0x80000000, v2
	v_lshlrev_b32_e32 v3, 13, v3
                                        ; implicit-def: $vgpr70
	s_delay_alu instid0(VALU_DEP_1)
	v_or3_b32 v69, v3, v2, 0x7f800000
                                        ; implicit-def: $vgpr3
                                        ; implicit-def: $vgpr2
; %bb.184:                              ;   in Loop: Header=BB34_3 Depth=1
	s_and_not1_saveexec_b32 s35, s35
	s_cbranch_execz .LBB34_194
; %bb.185:                              ;   in Loop: Header=BB34_3 Depth=1
	v_and_b32_e32 v71, 0x3ff, v3
	s_mov_b32 s36, exec_lo
                                        ; implicit-def: $vgpr69
	v_cmpx_ne_u32_e32 0, v70
	s_xor_b32 s36, exec_lo, s36
; %bb.186:                              ;   in Loop: Header=BB34_3 Depth=1
	v_and_b32_e32 v2, 0x80000000, v2
	v_lshlrev_b32_e32 v3, 23, v70
	v_lshlrev_b32_e32 v69, 13, v71
                                        ; implicit-def: $vgpr71
	s_delay_alu instid0(VALU_DEP_1) | instskip(NEXT) | instid1(VALU_DEP_1)
	v_or3_b32 v2, v3, v2, v69
                                        ; implicit-def: $vgpr3
	v_add_nc_u32_e32 v69, 0x38000000, v2
                                        ; implicit-def: $vgpr2
; %bb.187:                              ;   in Loop: Header=BB34_3 Depth=1
	s_and_not1_saveexec_b32 s36, s36
	s_cbranch_execz .LBB34_193
; %bb.188:                              ;   in Loop: Header=BB34_3 Depth=1
	s_mov_b32 s37, exec_lo
                                        ; implicit-def: $vgpr69
	v_cmpx_ne_u32_e32 0, v71
	s_xor_b32 s37, exec_lo, s37
; %bb.189:                              ;   in Loop: Header=BB34_3 Depth=1
	v_clz_i32_u32_e32 v69, v71
	s_delay_alu instid0(VALU_DEP_1) | instskip(SKIP_1) | instid1(VALU_DEP_2)
	v_xor_b32_e32 v70, 31, v69
	v_lshlrev_b32_e32 v69, 23, v69
	v_sub_nc_u32_e32 v70, 9, v70
	s_delay_alu instid0(VALU_DEP_1) | instskip(NEXT) | instid1(VALU_DEP_1)
	v_lshlrev_b32_e32 v3, v70, v3
	v_lshlrev_b32_e32 v3, 14, v3
	s_delay_alu instid0(VALU_DEP_1) | instskip(NEXT) | instid1(VALU_DEP_1)
	v_and_b32_e32 v3, 0x7fc000, v3
	v_and_or_b32 v2, 0x80000000, v2, v3
	s_delay_alu instid0(VALU_DEP_1) | instskip(NEXT) | instid1(VALU_DEP_1)
	v_sub_nc_u32_e32 v2, v2, v69
	v_add_nc_u32_e32 v69, 0x43000000, v2
                                        ; implicit-def: $vgpr2
; %bb.190:                              ;   in Loop: Header=BB34_3 Depth=1
	s_and_not1_saveexec_b32 s37, s37
; %bb.191:                              ;   in Loop: Header=BB34_3 Depth=1
	v_and_b32_e32 v69, 0x80000000, v2
; %bb.192:                              ;   in Loop: Header=BB34_3 Depth=1
	s_or_b32 exec_lo, exec_lo, s37
.LBB34_193:                             ;   in Loop: Header=BB34_3 Depth=1
	s_delay_alu instid0(SALU_CYCLE_1)
	s_or_b32 exec_lo, exec_lo, s36
.LBB34_194:                             ;   in Loop: Header=BB34_3 Depth=1
	s_delay_alu instid0(SALU_CYCLE_1)
	s_or_b32 exec_lo, exec_lo, s35
	v_add_co_u32 v2, vcc_lo, v0, s23
	v_add_co_ci_u32_e32 v3, vcc_lo, 0, v1, vcc_lo
	s_and_not1_b32 vcc_lo, exec_lo, s26
	s_cbranch_vccnz .LBB34_196
; %bb.195:                              ;   in Loop: Header=BB34_3 Depth=1
	s_clause 0x2
	global_load_u8 v70, v[2:3], off
	global_load_u8 v71, v[2:3], off offset:4
	global_load_u8 v72, v[2:3], off offset:8
	s_waitcnt vmcnt(2)
	v_lshrrev_b16 v70, 2, v70
	s_waitcnt vmcnt(1)
	v_lshrrev_b16 v71, 2, v71
	s_waitcnt vmcnt(0)
	v_and_b32_e32 v73, 15, v72
	v_lshrrev_b16 v72, 4, v72
	v_and_b32_e32 v70, 48, v70
	v_and_b32_e32 v74, 48, v71
	s_delay_alu instid0(VALU_DEP_2) | instskip(NEXT) | instid1(VALU_DEP_2)
	v_or_b32_e32 v71, v70, v73
	v_or_b32_e32 v70, v74, v72
	s_cbranch_execz .LBB34_197
	s_branch .LBB34_198
.LBB34_196:                             ;   in Loop: Header=BB34_3 Depth=1
                                        ; implicit-def: $vgpr70
                                        ; implicit-def: $vgpr71
.LBB34_197:                             ;   in Loop: Header=BB34_3 Depth=1
	s_clause 0x1
	global_load_u8 v70, v[2:3], off offset:4
	global_load_u8 v2, v[2:3], off offset:8
	s_waitcnt vmcnt(1)
	v_and_b32_e32 v71, 63, v70
	s_waitcnt vmcnt(0)
	v_and_b32_e32 v70, 63, v2
.LBB34_198:                             ;   in Loop: Header=BB34_3 Depth=1
	v_add_co_u32 v0, vcc_lo, v0, v67
	v_add_co_ci_u32_e32 v1, vcc_lo, 0, v1, vcc_lo
	v_cvt_f32_ubyte0_e32 v2, v71
	global_load_u8 v0, v[0:1], off offset:16
	s_waitcnt vmcnt(0)
	v_dual_mul_f32 v2, v68, v2 :: v_dual_and_b32 v1, 15, v0
	v_lshrrev_b32_e32 v0, 4, v0
	s_delay_alu instid0(VALU_DEP_1) | instskip(SKIP_1) | instid1(VALU_DEP_2)
	v_cndmask_b32_e64 v0, v0, v1, s16
	v_cvt_f32_ubyte0_e32 v1, v70
	v_cvt_f32_ubyte0_e32 v0, v0
	s_delay_alu instid0(VALU_DEP_2) | instskip(NEXT) | instid1(VALU_DEP_1)
	v_mul_f32_e32 v1, v69, v1
	v_fma_f32 v0, v2, v0, -v1
.LBB34_199:                             ;   in Loop: Header=BB34_3 Depth=1
	s_or_b32 exec_lo, exec_lo, s34
	v_mov_b32_e32 v1, 0
	ds_store_b32 v42, v0
	s_and_saveexec_b32 s34, s7
	s_cbranch_execz .LBB34_227
; %bb.200:                              ;   in Loop: Header=BB34_3 Depth=1
	v_add_nc_u32_e32 v2, s27, v44
	s_mov_b32 s27, exec_lo
	s_delay_alu instid0(VALU_DEP_1) | instskip(SKIP_1) | instid1(VALU_DEP_1)
	v_mad_u64_u32 v[0:1], null, v2, 36, s[30:31]
	v_mov_b32_e32 v1, v50
	v_lshlrev_b64 v[0:1], 2, v[0:1]
	s_delay_alu instid0(VALU_DEP_1) | instskip(NEXT) | instid1(VALU_DEP_2)
	v_add_co_u32 v0, vcc_lo, s24, v0
	v_add_co_ci_u32_e32 v1, vcc_lo, s25, v1, vcc_lo
	global_load_b32 v2, v[0:1], off
	s_waitcnt vmcnt(0)
	v_bfe_u32 v3, v2, 15, 1
	v_bfe_u32 v69, v2, 10, 5
	s_delay_alu instid0(VALU_DEP_2) | instskip(NEXT) | instid1(VALU_DEP_2)
	v_lshlrev_b32_e32 v68, 31, v3
	v_cmpx_lt_i32_e32 30, v69
	s_xor_b32 s27, exec_lo, s27
; %bb.201:                              ;   in Loop: Header=BB34_3 Depth=1
	v_and_b32_e32 v68, 0xffff, v2
	v_lshlrev_b32_e32 v3, 31, v3
                                        ; implicit-def: $vgpr69
	s_delay_alu instid0(VALU_DEP_2) | instskip(NEXT) | instid1(VALU_DEP_1)
	v_lshlrev_b32_e32 v68, 13, v68
	v_or3_b32 v68, v3, v68, 0x7f800000
                                        ; implicit-def: $vgpr3
; %bb.202:                              ;   in Loop: Header=BB34_3 Depth=1
	s_and_not1_saveexec_b32 s27, s27
	s_cbranch_execz .LBB34_210
; %bb.203:                              ;   in Loop: Header=BB34_3 Depth=1
	v_and_b32_e32 v70, 0x3ff, v2
	s_mov_b32 s35, exec_lo
	v_cmpx_ne_u32_e32 0, v69
	s_xor_b32 s35, exec_lo, s35
; %bb.204:                              ;   in Loop: Header=BB34_3 Depth=1
	v_lshlrev_b32_e32 v3, 31, v3
	v_lshlrev_b32_e32 v68, 23, v69
	;; [unrolled: 1-line block ×3, first 2 shown]
                                        ; implicit-def: $vgpr70
	s_delay_alu instid0(VALU_DEP_1) | instskip(NEXT) | instid1(VALU_DEP_1)
	v_or3_b32 v3, v68, v3, v69
	v_add_nc_u32_e32 v68, 0x38000000, v3
                                        ; implicit-def: $vgpr3
; %bb.205:                              ;   in Loop: Header=BB34_3 Depth=1
	s_and_not1_saveexec_b32 s35, s35
	s_cbranch_execz .LBB34_209
; %bb.206:                              ;   in Loop: Header=BB34_3 Depth=1
	s_mov_b32 s36, exec_lo
	v_cmpx_ne_u32_e32 0, v70
	s_xor_b32 s36, exec_lo, s36
; %bb.207:                              ;   in Loop: Header=BB34_3 Depth=1
	v_clz_i32_u32_e32 v68, v70
	v_lshlrev_b32_e32 v3, 31, v3
	s_delay_alu instid0(VALU_DEP_2) | instskip(SKIP_1) | instid1(VALU_DEP_2)
	v_xor_b32_e32 v69, 31, v68
	v_lshlrev_b32_e32 v68, 23, v68
	v_sub_nc_u32_e32 v69, 9, v69
	s_delay_alu instid0(VALU_DEP_1) | instskip(NEXT) | instid1(VALU_DEP_1)
	v_lshlrev_b32_e32 v69, v69, v2
	v_lshlrev_b32_e32 v69, 14, v69
	s_delay_alu instid0(VALU_DEP_1) | instskip(NEXT) | instid1(VALU_DEP_1)
	v_and_or_b32 v3, 0x7fc000, v69, v3
	v_sub_nc_u32_e32 v3, v3, v68
	s_delay_alu instid0(VALU_DEP_1)
	v_add_nc_u32_e32 v68, 0x43000000, v3
; %bb.208:                              ;   in Loop: Header=BB34_3 Depth=1
	s_and_not1_saveexec_b32 s36, s36
	s_delay_alu instid0(SALU_CYCLE_1)
	s_or_b32 exec_lo, exec_lo, s36
.LBB34_209:                             ;   in Loop: Header=BB34_3 Depth=1
	s_delay_alu instid0(SALU_CYCLE_1)
	s_or_b32 exec_lo, exec_lo, s35
.LBB34_210:                             ;   in Loop: Header=BB34_3 Depth=1
	s_delay_alu instid0(SALU_CYCLE_1) | instskip(SKIP_3) | instid1(VALU_DEP_2)
	s_or_b32 exec_lo, exec_lo, s27
	v_bfe_u32 v70, v2, 26, 5
	v_lshrrev_b32_e32 v3, 16, v2
	s_mov_b32 s27, exec_lo
                                        ; implicit-def: $vgpr69
	v_cmpx_lt_i32_e32 30, v70
	s_xor_b32 s27, exec_lo, s27
; %bb.211:                              ;   in Loop: Header=BB34_3 Depth=1
	v_and_b32_e32 v2, 0x80000000, v2
	v_lshlrev_b32_e32 v3, 13, v3
                                        ; implicit-def: $vgpr70
	s_delay_alu instid0(VALU_DEP_1)
	v_or3_b32 v69, v3, v2, 0x7f800000
                                        ; implicit-def: $vgpr3
                                        ; implicit-def: $vgpr2
; %bb.212:                              ;   in Loop: Header=BB34_3 Depth=1
	s_and_not1_saveexec_b32 s27, s27
	s_cbranch_execz .LBB34_222
; %bb.213:                              ;   in Loop: Header=BB34_3 Depth=1
	v_and_b32_e32 v71, 0x3ff, v3
	s_mov_b32 s35, exec_lo
                                        ; implicit-def: $vgpr69
	v_cmpx_ne_u32_e32 0, v70
	s_xor_b32 s35, exec_lo, s35
; %bb.214:                              ;   in Loop: Header=BB34_3 Depth=1
	v_and_b32_e32 v2, 0x80000000, v2
	v_lshlrev_b32_e32 v3, 23, v70
	v_lshlrev_b32_e32 v69, 13, v71
                                        ; implicit-def: $vgpr71
	s_delay_alu instid0(VALU_DEP_1) | instskip(NEXT) | instid1(VALU_DEP_1)
	v_or3_b32 v2, v3, v2, v69
                                        ; implicit-def: $vgpr3
	v_add_nc_u32_e32 v69, 0x38000000, v2
                                        ; implicit-def: $vgpr2
; %bb.215:                              ;   in Loop: Header=BB34_3 Depth=1
	s_and_not1_saveexec_b32 s35, s35
	s_cbranch_execz .LBB34_221
; %bb.216:                              ;   in Loop: Header=BB34_3 Depth=1
	s_mov_b32 s36, exec_lo
                                        ; implicit-def: $vgpr69
	v_cmpx_ne_u32_e32 0, v71
	s_xor_b32 s36, exec_lo, s36
; %bb.217:                              ;   in Loop: Header=BB34_3 Depth=1
	v_clz_i32_u32_e32 v69, v71
	s_delay_alu instid0(VALU_DEP_1) | instskip(SKIP_1) | instid1(VALU_DEP_2)
	v_xor_b32_e32 v70, 31, v69
	v_lshlrev_b32_e32 v69, 23, v69
	v_sub_nc_u32_e32 v70, 9, v70
	s_delay_alu instid0(VALU_DEP_1) | instskip(NEXT) | instid1(VALU_DEP_1)
	v_lshlrev_b32_e32 v3, v70, v3
	v_lshlrev_b32_e32 v3, 14, v3
	s_delay_alu instid0(VALU_DEP_1) | instskip(NEXT) | instid1(VALU_DEP_1)
	v_and_b32_e32 v3, 0x7fc000, v3
	v_and_or_b32 v2, 0x80000000, v2, v3
	s_delay_alu instid0(VALU_DEP_1) | instskip(NEXT) | instid1(VALU_DEP_1)
	v_sub_nc_u32_e32 v2, v2, v69
	v_add_nc_u32_e32 v69, 0x43000000, v2
                                        ; implicit-def: $vgpr2
; %bb.218:                              ;   in Loop: Header=BB34_3 Depth=1
	s_and_not1_saveexec_b32 s36, s36
; %bb.219:                              ;   in Loop: Header=BB34_3 Depth=1
	v_and_b32_e32 v69, 0x80000000, v2
; %bb.220:                              ;   in Loop: Header=BB34_3 Depth=1
	s_or_b32 exec_lo, exec_lo, s36
.LBB34_221:                             ;   in Loop: Header=BB34_3 Depth=1
	s_delay_alu instid0(SALU_CYCLE_1)
	s_or_b32 exec_lo, exec_lo, s35
.LBB34_222:                             ;   in Loop: Header=BB34_3 Depth=1
	s_delay_alu instid0(SALU_CYCLE_1)
	s_or_b32 exec_lo, exec_lo, s27
	v_add_co_u32 v2, vcc_lo, v0, s23
	v_add_co_ci_u32_e32 v3, vcc_lo, 0, v1, vcc_lo
	s_and_not1_b32 vcc_lo, exec_lo, s26
	s_cbranch_vccnz .LBB34_224
; %bb.223:                              ;   in Loop: Header=BB34_3 Depth=1
	s_clause 0x2
	global_load_u8 v70, v[2:3], off
	global_load_u8 v71, v[2:3], off offset:4
	global_load_u8 v72, v[2:3], off offset:8
	s_waitcnt vmcnt(2)
	v_lshrrev_b16 v70, 2, v70
	s_waitcnt vmcnt(1)
	v_lshrrev_b16 v71, 2, v71
	s_waitcnt vmcnt(0)
	v_and_b32_e32 v73, 15, v72
	v_lshrrev_b16 v72, 4, v72
	v_and_b32_e32 v70, 48, v70
	v_and_b32_e32 v74, 48, v71
	s_delay_alu instid0(VALU_DEP_2) | instskip(NEXT) | instid1(VALU_DEP_2)
	v_or_b32_e32 v71, v70, v73
	v_or_b32_e32 v70, v74, v72
	s_cbranch_execz .LBB34_225
	s_branch .LBB34_226
.LBB34_224:                             ;   in Loop: Header=BB34_3 Depth=1
                                        ; implicit-def: $vgpr70
                                        ; implicit-def: $vgpr71
.LBB34_225:                             ;   in Loop: Header=BB34_3 Depth=1
	s_clause 0x1
	global_load_u8 v70, v[2:3], off offset:4
	global_load_u8 v2, v[2:3], off offset:8
	s_waitcnt vmcnt(1)
	v_and_b32_e32 v71, 63, v70
	s_waitcnt vmcnt(0)
	v_and_b32_e32 v70, 63, v2
.LBB34_226:                             ;   in Loop: Header=BB34_3 Depth=1
	v_add_co_u32 v0, vcc_lo, v0, v67
	v_add_co_ci_u32_e32 v1, vcc_lo, 0, v1, vcc_lo
	v_cvt_f32_ubyte0_e32 v2, v71
	global_load_u8 v0, v[0:1], off offset:16
	s_waitcnt vmcnt(0)
	v_dual_mul_f32 v2, v68, v2 :: v_dual_and_b32 v1, 15, v0
	v_lshrrev_b32_e32 v0, 4, v0
	s_delay_alu instid0(VALU_DEP_1) | instskip(SKIP_1) | instid1(VALU_DEP_2)
	v_cndmask_b32_e64 v0, v0, v1, s16
	v_cvt_f32_ubyte0_e32 v1, v70
	v_cvt_f32_ubyte0_e32 v0, v0
	s_delay_alu instid0(VALU_DEP_2) | instskip(NEXT) | instid1(VALU_DEP_1)
	v_mul_f32_e32 v1, v69, v1
	v_fma_f32 v1, v2, v0, -v1
.LBB34_227:                             ;   in Loop: Header=BB34_3 Depth=1
	s_or_b32 exec_lo, exec_lo, s34
	v_mov_b32_e32 v0, 0
	v_mov_b32_e32 v2, 0
	ds_store_b32 v46, v1
	s_and_saveexec_b32 s16, s8
	s_cbranch_execz .LBB34_229
; %bb.228:                              ;   in Loop: Header=BB34_3 Depth=1
	v_add_co_u32 v1, vcc_lo, v65, v49
	v_add_co_ci_u32_e32 v2, vcc_lo, 0, v66, vcc_lo
	global_load_b32 v2, v[1:2], off
.LBB34_229:                             ;   in Loop: Header=BB34_3 Depth=1
	s_or_b32 exec_lo, exec_lo, s16
	s_waitcnt vmcnt(0)
	ds_store_b32 v23, v2
	s_and_saveexec_b32 s16, s9
	s_cbranch_execz .LBB34_231
; %bb.230:                              ;   in Loop: Header=BB34_3 Depth=1
	v_add_co_u32 v0, vcc_lo, v63, v49
	v_add_co_ci_u32_e32 v1, vcc_lo, 0, v64, vcc_lo
	global_load_b32 v0, v[0:1], off
.LBB34_231:                             ;   in Loop: Header=BB34_3 Depth=1
	s_or_b32 exec_lo, exec_lo, s16
	v_dual_mov_b32 v1, 0 :: v_dual_mov_b32 v2, 0
	s_waitcnt vmcnt(0)
	ds_store_b32 v26, v0
	s_and_saveexec_b32 s16, s10
	s_cbranch_execz .LBB34_233
; %bb.232:                              ;   in Loop: Header=BB34_3 Depth=1
	v_add_co_u32 v2, vcc_lo, v61, v49
	v_add_co_ci_u32_e32 v3, vcc_lo, 0, v62, vcc_lo
	global_load_b32 v2, v[2:3], off
.LBB34_233:                             ;   in Loop: Header=BB34_3 Depth=1
	s_or_b32 exec_lo, exec_lo, s16
	s_waitcnt vmcnt(0)
	ds_store_b32 v29, v2
	s_and_saveexec_b32 s16, s11
	s_cbranch_execz .LBB34_235
; %bb.234:                              ;   in Loop: Header=BB34_3 Depth=1
	v_add_co_u32 v0, vcc_lo, v59, v49
	v_add_co_ci_u32_e32 v1, vcc_lo, 0, v60, vcc_lo
	global_load_b32 v1, v[0:1], off
.LBB34_235:                             ;   in Loop: Header=BB34_3 Depth=1
	s_or_b32 exec_lo, exec_lo, s16
	v_mov_b32_e32 v0, 0
	v_mov_b32_e32 v2, 0
	s_waitcnt vmcnt(0)
	ds_store_b32 v32, v1
	s_and_saveexec_b32 s16, s12
	s_cbranch_execz .LBB34_237
; %bb.236:                              ;   in Loop: Header=BB34_3 Depth=1
	v_add_co_u32 v1, vcc_lo, v57, v49
	v_add_co_ci_u32_e32 v2, vcc_lo, 0, v58, vcc_lo
	global_load_b32 v2, v[1:2], off
.LBB34_237:                             ;   in Loop: Header=BB34_3 Depth=1
	s_or_b32 exec_lo, exec_lo, s16
	s_waitcnt vmcnt(0)
	ds_store_b32 v23, v2 offset:128
	s_and_saveexec_b32 s16, s13
	s_cbranch_execz .LBB34_239
; %bb.238:                              ;   in Loop: Header=BB34_3 Depth=1
	v_add_co_u32 v0, vcc_lo, v55, v49
	v_add_co_ci_u32_e32 v1, vcc_lo, 0, v56, vcc_lo
	global_load_b32 v0, v[0:1], off
.LBB34_239:                             ;   in Loop: Header=BB34_3 Depth=1
	s_or_b32 exec_lo, exec_lo, s16
	v_dual_mov_b32 v1, 0 :: v_dual_mov_b32 v2, 0
	s_waitcnt vmcnt(0)
	ds_store_b32 v37, v0
	s_and_saveexec_b32 s16, s14
	s_cbranch_execz .LBB34_241
; %bb.240:                              ;   in Loop: Header=BB34_3 Depth=1
	v_add_co_u32 v2, vcc_lo, v53, v49
	v_add_co_ci_u32_e32 v3, vcc_lo, 0, v54, vcc_lo
	global_load_b32 v2, v[2:3], off
.LBB34_241:                             ;   in Loop: Header=BB34_3 Depth=1
	s_or_b32 exec_lo, exec_lo, s16
	s_waitcnt vmcnt(0)
	ds_store_b32 v39, v2
	s_and_saveexec_b32 s16, s15
	s_cbranch_execz .LBB34_2
; %bb.242:                              ;   in Loop: Header=BB34_3 Depth=1
	v_add_co_u32 v0, vcc_lo, v51, v49
	v_add_co_ci_u32_e32 v1, vcc_lo, 0, v52, vcc_lo
	global_load_b32 v1, v[0:1], off
	s_branch .LBB34_2
.LBB34_243:
                                        ; implicit-def: $vgpr45
                                        ; implicit-def: $vgpr33
                                        ; implicit-def: $vgpr22
                                        ; implicit-def: $vgpr20
                                        ; implicit-def: $vgpr19
                                        ; implicit-def: $vgpr16
                                        ; implicit-def: $vgpr13
                                        ; implicit-def: $vgpr12
                                        ; implicit-def: $vgpr11
                                        ; implicit-def: $vgpr10
                                        ; implicit-def: $vgpr9
                                        ; implicit-def: $vgpr8
                                        ; implicit-def: $vgpr7
                                        ; implicit-def: $vgpr6
                                        ; implicit-def: $vgpr5
                                        ; implicit-def: $vgpr4
                                        ; implicit-def: $vgpr17
                                        ; implicit-def: $vgpr18
	s_cbranch_execnz .LBB34_245
	s_branch .LBB34_246
.LBB34_244:
	s_branch .LBB34_246
.LBB34_245:
	v_dual_mov_b32 v4, 0 :: v_dual_mov_b32 v17, v14
	v_dual_mov_b32 v18, v15 :: v_dual_mov_b32 v5, 0
	;; [unrolled: 1-line block ×9, first 2 shown]
.LBB34_246:
	v_add_nc_u32_e32 v15, s17, v17
	v_or_b32_e32 v14, s31, v18
	s_lshr_b32 s6, s28, 2
	s_cmp_lg_u32 s29, 0
	s_cselect_b32 s2, -1, 0
	v_cmp_gt_u32_e64 s4, s20, v15
	v_cmp_gt_u32_e64 s0, s22, v14
	v_add_nc_u32_e32 v0, s6, v15
	v_cndmask_b32_e64 v3, 0, 1, s2
	s_delay_alu instid0(VALU_DEP_3) | instskip(NEXT) | instid1(SALU_CYCLE_1)
	s_and_b32 s3, s4, s0
	s_and_saveexec_b32 s1, s3
	s_cbranch_execz .LBB34_250
; %bb.247:
	v_mad_u64_u32 v[1:2], null, v14, s20, v[0:1]
	v_mov_b32_e32 v2, 0
	s_delay_alu instid0(VALU_DEP_1) | instskip(NEXT) | instid1(VALU_DEP_1)
	v_lshlrev_b64 v[1:2], 2, v[1:2]
	v_add_co_u32 v1, vcc_lo, s18, v1
	s_delay_alu instid0(VALU_DEP_2)
	v_add_co_ci_u32_e32 v2, vcc_lo, s19, v2, vcc_lo
	s_and_not1_b32 vcc_lo, exec_lo, s2
	s_cbranch_vccnz .LBB34_249
; %bb.248:
	global_load_b32 v17, v[1:2], off
	s_waitcnt vmcnt(0)
	v_add_f32_e32 v45, v45, v17
.LBB34_249:
	global_store_b32 v[1:2], v45, off
.LBB34_250:
	s_or_b32 exec_lo, exec_lo, s1
	v_or_b32_e32 v17, 1, v14
	s_delay_alu instid0(VALU_DEP_1) | instskip(NEXT) | instid1(VALU_DEP_1)
	v_cmp_gt_u32_e64 s1, s22, v17
	s_and_b32 s2, s4, s1
	s_delay_alu instid0(SALU_CYCLE_1)
	s_and_saveexec_b32 s3, s2
	s_cbranch_execz .LBB34_254
; %bb.251:
	v_mad_u64_u32 v[1:2], null, v17, s20, v[0:1]
	v_mov_b32_e32 v2, 0
	v_cmp_ne_u32_e32 vcc_lo, 1, v3
	s_delay_alu instid0(VALU_DEP_2) | instskip(NEXT) | instid1(VALU_DEP_1)
	v_lshlrev_b64 v[1:2], 2, v[1:2]
	v_add_co_u32 v1, s2, s18, v1
	s_delay_alu instid0(VALU_DEP_1)
	v_add_co_ci_u32_e64 v2, s2, s19, v2, s2
	s_cbranch_vccnz .LBB34_253
; %bb.252:
	global_load_b32 v18, v[1:2], off
	s_waitcnt vmcnt(0)
	v_add_f32_e32 v33, v33, v18
.LBB34_253:
	global_store_b32 v[1:2], v33, off
.LBB34_254:
	s_or_b32 exec_lo, exec_lo, s3
	v_or_b32_e32 v18, 2, v14
	s_delay_alu instid0(VALU_DEP_1) | instskip(NEXT) | instid1(VALU_DEP_1)
	v_cmp_gt_u32_e64 s2, s22, v18
	s_and_b32 s3, s4, s2
	s_delay_alu instid0(SALU_CYCLE_1)
	s_and_saveexec_b32 s5, s3
	s_cbranch_execz .LBB34_258
; %bb.255:
	v_mad_u64_u32 v[1:2], null, v18, s20, v[0:1]
	v_mov_b32_e32 v2, 0
	v_cmp_ne_u32_e32 vcc_lo, 1, v3
	s_delay_alu instid0(VALU_DEP_2) | instskip(NEXT) | instid1(VALU_DEP_1)
	v_lshlrev_b64 v[1:2], 2, v[1:2]
	v_add_co_u32 v1, s3, s18, v1
	s_delay_alu instid0(VALU_DEP_1)
	v_add_co_ci_u32_e64 v2, s3, s19, v2, s3
	s_cbranch_vccnz .LBB34_257
; %bb.256:
	global_load_b32 v21, v[1:2], off
	s_waitcnt vmcnt(0)
	v_add_f32_e32 v22, v22, v21
.LBB34_257:
	global_store_b32 v[1:2], v22, off
.LBB34_258:
	;; [unrolled: 25-line block ×3, first 2 shown]
	s_or_b32 exec_lo, exec_lo, s5
	v_or_b32_e32 v0, 1, v15
	s_delay_alu instid0(VALU_DEP_1) | instskip(SKIP_1) | instid1(VALU_DEP_2)
	v_cmp_gt_u32_e64 s4, s20, v0
	v_add_nc_u32_e32 v0, s6, v0
	s_and_b32 s5, s4, s0
	s_delay_alu instid0(SALU_CYCLE_1)
	s_and_saveexec_b32 s7, s5
	s_cbranch_execnz .LBB34_266
; %bb.263:
	s_or_b32 exec_lo, exec_lo, s7
	s_and_b32 s5, s4, s1
	s_delay_alu instid0(SALU_CYCLE_1)
	s_and_saveexec_b32 s7, s5
	s_cbranch_execnz .LBB34_269
.LBB34_264:
	s_or_b32 exec_lo, exec_lo, s7
	s_and_b32 s5, s4, s2
	s_delay_alu instid0(SALU_CYCLE_1)
	s_and_saveexec_b32 s7, s5
	s_cbranch_execnz .LBB34_272
.LBB34_265:
	s_or_b32 exec_lo, exec_lo, s7
	s_and_b32 s4, s4, s3
	s_delay_alu instid0(SALU_CYCLE_1)
	s_and_saveexec_b32 s5, s4
	s_cbranch_execnz .LBB34_275
	s_branch .LBB34_278
.LBB34_266:
	s_delay_alu instid0(VALU_DEP_1) | instskip(SKIP_2) | instid1(VALU_DEP_2)
	v_mad_u64_u32 v[1:2], null, v14, s20, v[0:1]
	v_mov_b32_e32 v2, 0
	v_cmp_ne_u32_e32 vcc_lo, 1, v3
	v_lshlrev_b64 v[1:2], 2, v[1:2]
	s_delay_alu instid0(VALU_DEP_1) | instskip(NEXT) | instid1(VALU_DEP_1)
	v_add_co_u32 v1, s5, s18, v1
	v_add_co_ci_u32_e64 v2, s5, s19, v2, s5
	s_cbranch_vccnz .LBB34_268
; %bb.267:
	global_load_b32 v20, v[1:2], off
	s_waitcnt vmcnt(0)
	v_add_f32_e32 v19, v19, v20
.LBB34_268:
	global_store_b32 v[1:2], v19, off
	s_or_b32 exec_lo, exec_lo, s7
	s_and_b32 s5, s4, s1
	s_delay_alu instid0(SALU_CYCLE_1)
	s_and_saveexec_b32 s7, s5
	s_cbranch_execz .LBB34_264
.LBB34_269:
	v_mad_u64_u32 v[1:2], null, v17, s20, v[0:1]
	v_mov_b32_e32 v2, 0
	v_cmp_ne_u32_e32 vcc_lo, 1, v3
	s_delay_alu instid0(VALU_DEP_2) | instskip(NEXT) | instid1(VALU_DEP_1)
	v_lshlrev_b64 v[1:2], 2, v[1:2]
	v_add_co_u32 v1, s5, s18, v1
	s_delay_alu instid0(VALU_DEP_1)
	v_add_co_ci_u32_e64 v2, s5, s19, v2, s5
	s_cbranch_vccnz .LBB34_271
; %bb.270:
	global_load_b32 v19, v[1:2], off
	s_waitcnt vmcnt(0)
	v_add_f32_e32 v16, v16, v19
.LBB34_271:
	global_store_b32 v[1:2], v16, off
	s_or_b32 exec_lo, exec_lo, s7
	s_and_b32 s5, s4, s2
	s_delay_alu instid0(SALU_CYCLE_1)
	s_and_saveexec_b32 s7, s5
	s_cbranch_execz .LBB34_265
.LBB34_272:
	v_mad_u64_u32 v[1:2], null, v18, s20, v[0:1]
	v_mov_b32_e32 v2, 0
	v_cmp_ne_u32_e32 vcc_lo, 1, v3
	s_delay_alu instid0(VALU_DEP_2) | instskip(NEXT) | instid1(VALU_DEP_1)
	v_lshlrev_b64 v[1:2], 2, v[1:2]
	v_add_co_u32 v1, s5, s18, v1
	s_delay_alu instid0(VALU_DEP_1)
	v_add_co_ci_u32_e64 v2, s5, s19, v2, s5
	s_cbranch_vccnz .LBB34_274
; %bb.273:
	global_load_b32 v16, v[1:2], off
	s_waitcnt vmcnt(0)
	v_add_f32_e32 v13, v13, v16
.LBB34_274:
	global_store_b32 v[1:2], v13, off
	s_or_b32 exec_lo, exec_lo, s7
	s_and_b32 s4, s4, s3
	s_delay_alu instid0(SALU_CYCLE_1)
	s_and_saveexec_b32 s5, s4
	s_cbranch_execz .LBB34_278
.LBB34_275:
	v_mad_u64_u32 v[1:2], null, v21, s20, v[0:1]
	v_mov_b32_e32 v2, 0
	v_cmp_ne_u32_e32 vcc_lo, 1, v3
	s_delay_alu instid0(VALU_DEP_2) | instskip(NEXT) | instid1(VALU_DEP_1)
	v_lshlrev_b64 v[0:1], 2, v[1:2]
	v_add_co_u32 v0, s4, s18, v0
	s_delay_alu instid0(VALU_DEP_1)
	v_add_co_ci_u32_e64 v1, s4, s19, v1, s4
	s_cbranch_vccnz .LBB34_277
; %bb.276:
	global_load_b32 v2, v[0:1], off
	s_waitcnt vmcnt(0)
	v_add_f32_e32 v12, v12, v2
.LBB34_277:
	global_store_b32 v[0:1], v12, off
.LBB34_278:
	s_or_b32 exec_lo, exec_lo, s5
	v_or_b32_e32 v0, 2, v15
	s_delay_alu instid0(VALU_DEP_1) | instskip(SKIP_1) | instid1(VALU_DEP_2)
	v_cmp_gt_u32_e64 s4, s20, v0
	v_add_nc_u32_e32 v0, s6, v0
	s_and_b32 s5, s4, s0
	s_delay_alu instid0(SALU_CYCLE_1)
	s_and_saveexec_b32 s7, s5
	s_cbranch_execnz .LBB34_282
; %bb.279:
	s_or_b32 exec_lo, exec_lo, s7
	s_and_b32 s5, s4, s1
	s_delay_alu instid0(SALU_CYCLE_1)
	s_and_saveexec_b32 s7, s5
	s_cbranch_execnz .LBB34_285
.LBB34_280:
	s_or_b32 exec_lo, exec_lo, s7
	s_and_b32 s5, s4, s2
	s_delay_alu instid0(SALU_CYCLE_1)
	s_and_saveexec_b32 s7, s5
	s_cbranch_execnz .LBB34_288
.LBB34_281:
	s_or_b32 exec_lo, exec_lo, s7
	s_and_b32 s4, s4, s3
	s_delay_alu instid0(SALU_CYCLE_1)
	s_and_saveexec_b32 s5, s4
	s_cbranch_execnz .LBB34_291
	s_branch .LBB34_294
.LBB34_282:
	s_delay_alu instid0(VALU_DEP_1) | instskip(SKIP_2) | instid1(VALU_DEP_2)
	v_mad_u64_u32 v[1:2], null, v14, s20, v[0:1]
	v_mov_b32_e32 v2, 0
	v_cmp_ne_u32_e32 vcc_lo, 1, v3
	v_lshlrev_b64 v[1:2], 2, v[1:2]
	s_delay_alu instid0(VALU_DEP_1) | instskip(NEXT) | instid1(VALU_DEP_1)
	v_add_co_u32 v1, s5, s18, v1
	v_add_co_ci_u32_e64 v2, s5, s19, v2, s5
	s_cbranch_vccnz .LBB34_284
; %bb.283:
	global_load_b32 v12, v[1:2], off
	s_waitcnt vmcnt(0)
	v_add_f32_e32 v11, v11, v12
.LBB34_284:
	global_store_b32 v[1:2], v11, off
	s_or_b32 exec_lo, exec_lo, s7
	s_and_b32 s5, s4, s1
	s_delay_alu instid0(SALU_CYCLE_1)
	s_and_saveexec_b32 s7, s5
	s_cbranch_execz .LBB34_280
.LBB34_285:
	v_mad_u64_u32 v[1:2], null, v17, s20, v[0:1]
	v_mov_b32_e32 v2, 0
	v_cmp_ne_u32_e32 vcc_lo, 1, v3
	s_delay_alu instid0(VALU_DEP_2) | instskip(NEXT) | instid1(VALU_DEP_1)
	v_lshlrev_b64 v[1:2], 2, v[1:2]
	v_add_co_u32 v1, s5, s18, v1
	s_delay_alu instid0(VALU_DEP_1)
	v_add_co_ci_u32_e64 v2, s5, s19, v2, s5
	s_cbranch_vccnz .LBB34_287
; %bb.286:
	global_load_b32 v11, v[1:2], off
	s_waitcnt vmcnt(0)
	v_add_f32_e32 v10, v10, v11
.LBB34_287:
	global_store_b32 v[1:2], v10, off
	s_or_b32 exec_lo, exec_lo, s7
	s_and_b32 s5, s4, s2
	s_delay_alu instid0(SALU_CYCLE_1)
	s_and_saveexec_b32 s7, s5
	s_cbranch_execz .LBB34_281
.LBB34_288:
	v_mad_u64_u32 v[1:2], null, v18, s20, v[0:1]
	v_mov_b32_e32 v2, 0
	v_cmp_ne_u32_e32 vcc_lo, 1, v3
	s_delay_alu instid0(VALU_DEP_2) | instskip(NEXT) | instid1(VALU_DEP_1)
	v_lshlrev_b64 v[1:2], 2, v[1:2]
	v_add_co_u32 v1, s5, s18, v1
	s_delay_alu instid0(VALU_DEP_1)
	v_add_co_ci_u32_e64 v2, s5, s19, v2, s5
	s_cbranch_vccnz .LBB34_290
; %bb.289:
	global_load_b32 v10, v[1:2], off
	s_waitcnt vmcnt(0)
	v_add_f32_e32 v9, v9, v10
.LBB34_290:
	global_store_b32 v[1:2], v9, off
	s_or_b32 exec_lo, exec_lo, s7
	s_and_b32 s4, s4, s3
	s_delay_alu instid0(SALU_CYCLE_1)
	s_and_saveexec_b32 s5, s4
	s_cbranch_execz .LBB34_294
.LBB34_291:
	v_mad_u64_u32 v[1:2], null, v21, s20, v[0:1]
	v_mov_b32_e32 v2, 0
	v_cmp_ne_u32_e32 vcc_lo, 1, v3
	s_delay_alu instid0(VALU_DEP_2) | instskip(NEXT) | instid1(VALU_DEP_1)
	v_lshlrev_b64 v[0:1], 2, v[1:2]
	v_add_co_u32 v0, s4, s18, v0
	s_delay_alu instid0(VALU_DEP_1)
	v_add_co_ci_u32_e64 v1, s4, s19, v1, s4
	s_cbranch_vccnz .LBB34_293
; %bb.292:
	global_load_b32 v2, v[0:1], off
	s_waitcnt vmcnt(0)
	v_add_f32_e32 v8, v8, v2
.LBB34_293:
	global_store_b32 v[0:1], v8, off
.LBB34_294:
	s_or_b32 exec_lo, exec_lo, s5
	v_or_b32_e32 v0, 3, v15
	s_delay_alu instid0(VALU_DEP_1) | instskip(SKIP_1) | instid1(VALU_DEP_2)
	v_cmp_gt_u32_e64 s4, s20, v0
	v_add_nc_u32_e32 v0, s6, v0
	s_and_b32 s0, s4, s0
	s_delay_alu instid0(SALU_CYCLE_1)
	s_and_saveexec_b32 s5, s0
	s_cbranch_execnz .LBB34_299
; %bb.295:
	s_or_b32 exec_lo, exec_lo, s5
	s_and_b32 s0, s4, s1
	s_delay_alu instid0(SALU_CYCLE_1)
	s_and_saveexec_b32 s1, s0
	s_cbranch_execnz .LBB34_302
.LBB34_296:
	s_or_b32 exec_lo, exec_lo, s1
	s_and_b32 s0, s4, s2
	s_delay_alu instid0(SALU_CYCLE_1)
	s_and_saveexec_b32 s1, s0
	s_cbranch_execnz .LBB34_305
.LBB34_297:
	s_or_b32 exec_lo, exec_lo, s1
	s_and_b32 s0, s4, s3
	s_delay_alu instid0(SALU_CYCLE_1)
	s_and_saveexec_b32 s1, s0
	s_cbranch_execnz .LBB34_308
.LBB34_298:
	s_nop 0
	s_sendmsg sendmsg(MSG_DEALLOC_VGPRS)
	s_endpgm
.LBB34_299:
	s_delay_alu instid0(VALU_DEP_1) | instskip(SKIP_2) | instid1(VALU_DEP_2)
	v_mad_u64_u32 v[1:2], null, v14, s20, v[0:1]
	v_mov_b32_e32 v2, 0
	v_cmp_ne_u32_e32 vcc_lo, 1, v3
	v_lshlrev_b64 v[1:2], 2, v[1:2]
	s_delay_alu instid0(VALU_DEP_1) | instskip(NEXT) | instid1(VALU_DEP_1)
	v_add_co_u32 v1, s0, s18, v1
	v_add_co_ci_u32_e64 v2, s0, s19, v2, s0
	s_cbranch_vccnz .LBB34_301
; %bb.300:
	global_load_b32 v8, v[1:2], off
	s_waitcnt vmcnt(0)
	v_add_f32_e32 v7, v7, v8
.LBB34_301:
	global_store_b32 v[1:2], v7, off
	s_or_b32 exec_lo, exec_lo, s5
	s_and_b32 s0, s4, s1
	s_delay_alu instid0(SALU_CYCLE_1)
	s_and_saveexec_b32 s1, s0
	s_cbranch_execz .LBB34_296
.LBB34_302:
	v_mad_u64_u32 v[1:2], null, v17, s20, v[0:1]
	v_mov_b32_e32 v2, 0
	v_cmp_ne_u32_e32 vcc_lo, 1, v3
	s_delay_alu instid0(VALU_DEP_2) | instskip(NEXT) | instid1(VALU_DEP_1)
	v_lshlrev_b64 v[1:2], 2, v[1:2]
	v_add_co_u32 v1, s0, s18, v1
	s_delay_alu instid0(VALU_DEP_1)
	v_add_co_ci_u32_e64 v2, s0, s19, v2, s0
	s_cbranch_vccnz .LBB34_304
; %bb.303:
	global_load_b32 v7, v[1:2], off
	s_waitcnt vmcnt(0)
	v_add_f32_e32 v6, v6, v7
.LBB34_304:
	global_store_b32 v[1:2], v6, off
	s_or_b32 exec_lo, exec_lo, s1
	s_and_b32 s0, s4, s2
	s_delay_alu instid0(SALU_CYCLE_1)
	s_and_saveexec_b32 s1, s0
	s_cbranch_execz .LBB34_297
.LBB34_305:
	v_mad_u64_u32 v[1:2], null, v18, s20, v[0:1]
	v_mov_b32_e32 v2, 0
	v_cmp_ne_u32_e32 vcc_lo, 1, v3
	s_delay_alu instid0(VALU_DEP_2) | instskip(NEXT) | instid1(VALU_DEP_1)
	v_lshlrev_b64 v[1:2], 2, v[1:2]
	v_add_co_u32 v1, s0, s18, v1
	s_delay_alu instid0(VALU_DEP_1)
	v_add_co_ci_u32_e64 v2, s0, s19, v2, s0
	s_cbranch_vccnz .LBB34_307
; %bb.306:
	global_load_b32 v6, v[1:2], off
	s_waitcnt vmcnt(0)
	v_add_f32_e32 v5, v5, v6
.LBB34_307:
	global_store_b32 v[1:2], v5, off
	s_or_b32 exec_lo, exec_lo, s1
	s_and_b32 s0, s4, s3
	s_delay_alu instid0(SALU_CYCLE_1)
	s_and_saveexec_b32 s1, s0
	s_cbranch_execz .LBB34_298
.LBB34_308:
	v_mad_u64_u32 v[1:2], null, v21, s20, v[0:1]
	v_mov_b32_e32 v2, 0
	v_cmp_ne_u32_e32 vcc_lo, 1, v3
	s_delay_alu instid0(VALU_DEP_2) | instskip(NEXT) | instid1(VALU_DEP_1)
	v_lshlrev_b64 v[0:1], 2, v[1:2]
	v_add_co_u32 v0, s0, s18, v0
	s_delay_alu instid0(VALU_DEP_1)
	v_add_co_ci_u32_e64 v1, s0, s19, v1, s0
	s_cbranch_vccnz .LBB34_310
; %bb.309:
	global_load_b32 v2, v[0:1], off
	s_waitcnt vmcnt(0)
	v_add_f32_e32 v4, v4, v2
.LBB34_310:
	global_store_b32 v[0:1], v4, off
	s_nop 0
	s_sendmsg sendmsg(MSG_DEALLOC_VGPRS)
	s_endpgm
	.section	.rodata,"a",@progbits
	.p2align	6, 0x0
	.amdhsa_kernel gemm_q4k_tiled_v2
		.amdhsa_group_segment_fixed_size 16384
		.amdhsa_private_segment_fixed_size 0
		.amdhsa_kernarg_size 52
		.amdhsa_user_sgpr_count 14
		.amdhsa_user_sgpr_dispatch_ptr 0
		.amdhsa_user_sgpr_queue_ptr 0
		.amdhsa_user_sgpr_kernarg_segment_ptr 1
		.amdhsa_user_sgpr_dispatch_id 0
		.amdhsa_user_sgpr_private_segment_size 0
		.amdhsa_wavefront_size32 1
		.amdhsa_uses_dynamic_stack 0
		.amdhsa_enable_private_segment 0
		.amdhsa_system_sgpr_workgroup_id_x 1
		.amdhsa_system_sgpr_workgroup_id_y 1
		.amdhsa_system_sgpr_workgroup_id_z 0
		.amdhsa_system_sgpr_workgroup_info 0
		.amdhsa_system_vgpr_workitem_id 0
		.amdhsa_next_free_vgpr 87
		.amdhsa_next_free_sgpr 38
		.amdhsa_reserve_vcc 1
		.amdhsa_float_round_mode_32 0
		.amdhsa_float_round_mode_16_64 0
		.amdhsa_float_denorm_mode_32 3
		.amdhsa_float_denorm_mode_16_64 3
		.amdhsa_dx10_clamp 1
		.amdhsa_ieee_mode 1
		.amdhsa_fp16_overflow 0
		.amdhsa_workgroup_processor_mode 1
		.amdhsa_memory_ordered 1
		.amdhsa_forward_progress 0
		.amdhsa_shared_vgpr_count 0
		.amdhsa_exception_fp_ieee_invalid_op 0
		.amdhsa_exception_fp_denorm_src 0
		.amdhsa_exception_fp_ieee_div_zero 0
		.amdhsa_exception_fp_ieee_overflow 0
		.amdhsa_exception_fp_ieee_underflow 0
		.amdhsa_exception_fp_ieee_inexact 0
		.amdhsa_exception_int_div_zero 0
	.end_amdhsa_kernel
	.text
.Lfunc_end34:
	.size	gemm_q4k_tiled_v2, .Lfunc_end34-gemm_q4k_tiled_v2
                                        ; -- End function
	.section	.AMDGPU.csdata,"",@progbits
; Kernel info:
; codeLenInByte = 12540
; NumSgprs: 40
; NumVgprs: 87
; ScratchSize: 0
; MemoryBound: 0
; FloatMode: 240
; IeeeMode: 1
; LDSByteSize: 16384 bytes/workgroup (compile time only)
; SGPRBlocks: 4
; VGPRBlocks: 10
; NumSGPRsForWavesPerEU: 40
; NumVGPRsForWavesPerEU: 87
; Occupancy: 16
; WaveLimiterHint : 0
; COMPUTE_PGM_RSRC2:SCRATCH_EN: 0
; COMPUTE_PGM_RSRC2:USER_SGPR: 14
; COMPUTE_PGM_RSRC2:TRAP_HANDLER: 0
; COMPUTE_PGM_RSRC2:TGID_X_EN: 1
; COMPUTE_PGM_RSRC2:TGID_Y_EN: 1
; COMPUTE_PGM_RSRC2:TGID_Z_EN: 0
; COMPUTE_PGM_RSRC2:TIDIG_COMP_CNT: 0
	.text
	.protected	gemm_q6k_tiled_v2       ; -- Begin function gemm_q6k_tiled_v2
	.globl	gemm_q6k_tiled_v2
	.p2align	8
	.type	gemm_q6k_tiled_v2,@function
gemm_q6k_tiled_v2:                      ; @gemm_q6k_tiled_v2
; %bb.0:
	s_clause 0x3
	s_load_b128 s[16:19], s[0:1], 0x18
	s_load_b128 s[20:23], s[0:1], 0x0
	s_load_b64 s[24:25], s[0:1], 0x10
	s_load_b64 s[26:27], s[0:1], 0x2c
	v_lshrrev_b32_e32 v18, 4, v0
	v_and_b32_e32 v17, 15, v0
	s_waitcnt lgkmcnt(0)
	s_lshl_b32 s19, s14, 6
	s_lshl_b32 s30, s15, 6
	v_lshlrev_b32_e32 v29, 2, v18
	v_lshlrev_b32_e32 v30, 2, v17
	s_cmp_gt_u32 s17, 31
	s_cbranch_scc0 .LBB35_203
; %bb.1:
	v_and_b32_e32 v35, 31, v0
	v_add_nc_u32_e32 v2, 0x200, v0
	v_lshrrev_b32_e32 v22, 5, v0
	v_add_nc_u32_e32 v1, 0x100, v0
	v_add_nc_u32_e32 v6, 0x300, v0
	v_lshlrev_b32_e32 v15, 6, v35
	v_lshrrev_b32_e32 v25, 5, v2
	v_dual_mov_b32 v43, 0 :: v_dual_add_nc_u32 v10, 0x600, v0
	v_lshrrev_b32_e32 v24, 5, v1
	s_delay_alu instid0(VALU_DEP_4) | instskip(NEXT) | instid1(VALU_DEP_4)
	v_or_b32_e32 v4, v22, v15
	v_or_b32_e32 v8, v25, v15
	v_dual_mov_b32 v49, 0 :: v_dual_add_nc_u32 v12, 0x700, v0
	v_or_b32_e32 v3, s19, v22
	s_delay_alu instid0(VALU_DEP_4) | instskip(NEXT) | instid1(VALU_DEP_4)
	v_lshlrev_b32_e32 v41, 2, v4
	v_lshlrev_b32_e32 v46, 2, v8
	v_add_nc_u32_e32 v8, 0x500, v0
	v_or_b32_e32 v5, s19, v24
	v_or_b32_e32 v4, v24, v15
	;; [unrolled: 1-line block ×3, first 2 shown]
	v_lshrrev_b32_e32 v26, 5, v6
	v_or_b32_e32 v20, 32, v22
	v_lshrrev_b32_e32 v21, 5, v8
	v_lshrrev_b32_e32 v23, 5, v10
	;; [unrolled: 1-line block ×3, first 2 shown]
	s_load_b64 s[28:29], s[0:1], 0x24
	s_lshr_b32 s0, s17, 8
	v_cmp_gt_u32_e64 s1, s16, v5
	s_mul_i32 s8, s0, 0xd2
	v_cmp_gt_u32_e64 s0, s16, v3
	v_mad_u64_u32 v[1:2], null, s8, v3, 0
	v_lshlrev_b32_e32 v44, 2, v4
	v_mad_u64_u32 v[3:4], null, s8, v5, 0
	v_cmp_gt_u32_e64 s2, s16, v7
	v_mad_u64_u32 v[5:6], null, s8, v7, 0
	v_or_b32_e32 v9, s19, v26
	v_or_b32_e32 v7, v26, v15
	;; [unrolled: 1-line block ×3, first 2 shown]
	v_add_nc_u32_e32 v13, s19, v21
	v_dual_mov_b32 v55, 0 :: v_dual_add_nc_u32 v16, s19, v23
	v_add_nc_u32_e32 v28, s19, v27
	v_or_b32_e32 v34, s30, v24
	v_bfe_u32 v36, v0, 4, 1
	v_cmp_gt_u32_e64 s3, s16, v9
	v_dual_mov_b32 v37, 0 :: v_dual_lshlrev_b32 v48, 2, v7
	v_mad_u64_u32 v[7:8], null, s8, v9, 0
	v_cmp_gt_u32_e64 s4, s16, v11
	v_mad_u64_u32 v[9:10], null, s8, v11, 0
	v_add_lshl_u32 v0, v21, v15, 2
	v_add_lshl_u32 v52, v23, v15, 2
	v_cmp_gt_u32_e64 s6, s16, v16
	v_cmp_gt_u32_e64 s7, s16, v28
	v_add_lshl_u32 v54, v27, v15, 2
	v_cmp_gt_u32_e64 s9, s18, v34
	v_or_b32_e32 v20, s30, v20
	v_dual_mov_b32 v34, 0 :: v_dual_add_nc_u32 v27, s30, v27
	v_cmp_gt_u32_e64 s5, s16, v13
	v_mad_u64_u32 v[11:12], null, s8, v13, 0
	v_mad_u64_u32 v[13:14], null, s8, v16, 0
	;; [unrolled: 1-line block ×3, first 2 shown]
	v_or_b32_e32 v28, s30, v25
	v_add_nc_u32_e32 v23, s30, v23
	v_cmp_gt_u32_e64 s12, s18, v20
	v_dual_mov_b32 v19, 0 :: v_dual_lshlrev_b32 v32, 2, v17
	s_delay_alu instid0(VALU_DEP_4)
	v_cmp_gt_u32_e64 s10, s18, v28
	v_add_nc_u32_e32 v28, s30, v21
	v_mad_u64_u32 v[20:21], null, s17, v27, 0
	v_lshlrev_b32_e32 v31, 2, v18
	v_lshl_or_b32 v57, v18, 4, 0x2000
	v_lshlrev_b32_e32 v58, 4, v17
	v_mad_u64_u32 v[17:18], null, s17, v23, 0
	v_cmp_gt_u32_e64 s15, s18, v27
	v_add_nc_u32_e32 v27, s30, v22
	s_lshr_b32 s31, s17, 5
	v_or_b32_e32 v33, s30, v22
	v_cmp_gt_u32_e64 s14, s18, v23
	v_lshlrev_b64 v[20:21], 2, v[20:21]
	v_mad_u64_u32 v[22:23], null, s17, v28, 0
	s_waitcnt lgkmcnt(0)
	s_add_u32 s20, s20, s28
	s_addc_u32 s21, s21, 0
	s_and_b32 s28, s29, -4
	v_cmp_gt_u32_e64 s13, s18, v28
	v_add_nc_u32_e32 v28, 32, v27
	s_add_u32 s22, s22, s28
	v_lshlrev_b64 v[17:18], 2, v[17:18]
	s_addc_u32 s23, s23, 0
	v_add_co_u32 v60, vcc_lo, s22, v20
	v_add_co_ci_u32_e32 v61, vcc_lo, s23, v21, vcc_lo
	v_lshlrev_b64 v[20:21], 2, v[22:23]
	v_mad_u64_u32 v[22:23], null, s17, v28, 0
	v_cmp_gt_u32_e64 s8, s18, v33
	v_or_b32_e32 v33, s30, v26
	v_add_co_u32 v62, vcc_lo, s22, v17
	v_add_nc_u32_e32 v26, s30, v26
	v_add_co_ci_u32_e32 v63, vcc_lo, s23, v18, vcc_lo
	v_add_co_u32 v64, vcc_lo, s22, v20
	v_add_co_ci_u32_e32 v65, vcc_lo, s23, v21, vcc_lo
	v_add_nc_u32_e32 v25, s30, v25
	v_lshlrev_b64 v[17:18], 2, v[22:23]
	v_mad_u64_u32 v[20:21], null, s17, v26, 0
	v_add_nc_u32_e32 v24, s30, v24
	s_delay_alu instid0(VALU_DEP_4) | instskip(NEXT) | instid1(VALU_DEP_4)
	v_mad_u64_u32 v[22:23], null, s17, v25, 0
	v_add_co_u32 v66, vcc_lo, s22, v17
	v_add_co_ci_u32_e32 v67, vcc_lo, s23, v18, vcc_lo
	v_lshlrev_b64 v[17:18], 2, v[20:21]
	v_mad_u64_u32 v[20:21], null, s17, v24, 0
	v_mad_u64_u32 v[24:25], null, s17, v27, 0
	v_lshlrev_b64 v[22:23], 2, v[22:23]
	s_delay_alu instid0(VALU_DEP_4) | instskip(SKIP_2) | instid1(VALU_DEP_4)
	v_add_co_u32 v68, vcc_lo, s22, v17
	v_add_co_ci_u32_e32 v69, vcc_lo, s23, v18, vcc_lo
	v_lshlrev_b64 v[17:18], 2, v[20:21]
	v_add_co_u32 v70, vcc_lo, s22, v22
	v_mov_b32_e32 v22, 0
	v_lshlrev_b64 v[20:21], 2, v[24:25]
	v_add_co_ci_u32_e32 v71, vcc_lo, s23, v23, vcc_lo
	v_add_co_u32 v72, vcc_lo, s22, v17
	v_add_co_ci_u32_e32 v73, vcc_lo, s23, v18, vcc_lo
	s_delay_alu instid0(VALU_DEP_4)
	v_add_co_u32 v74, vcc_lo, s22, v20
	v_or_b32_e32 v38, 6, v36
	v_or_b32_e32 v39, 4, v36
	v_or_b32_e32 v40, 2, v36
	v_or_b32_e32 v50, 0x2000, v48
	v_add_nc_u32_e32 v51, 0x2000, v0
	v_add_nc_u32_e32 v53, 0x2000, v52
	;; [unrolled: 1-line block ×3, first 2 shown]
	v_cmp_gt_u32_e64 s11, s18, v33
	v_add_co_ci_u32_e32 v75, vcc_lo, s23, v21, vcc_lo
	v_dual_mov_b32 v20, 0 :: v_dual_lshlrev_b32 v59, 2, v35
	v_mov_b32_e32 v21, 0
	v_mov_b32_e32 v23, 0
	v_or_b32_e32 v45, 0x2000, v44
	v_dual_mov_b32 v24, 0 :: v_dual_mov_b32 v25, 0
	v_dual_mov_b32 v26, 0 :: v_dual_mov_b32 v27, 0
	v_or_b32_e32 v47, 0x2000, v46
	v_mov_b32_e32 v28, 0
	v_or_b32_e32 v42, 0x2000, v41
	v_mov_b32_e32 v33, 0
	s_mov_b32 s17, 0
	s_branch .LBB35_3
.LBB35_2:                               ;   in Loop: Header=BB35_3 Depth=1
	s_or_b32 exec_lo, exec_lo, s22
	s_waitcnt vmcnt(0)
	ds_store_b32 v54, v18
	s_waitcnt lgkmcnt(0)
	s_barrier
	buffer_gl0_inv
	ds_load_b128 v[76:79], v58
	ds_load_b128 v[80:83], v57
	ds_load_b128 v[84:87], v57 offset:256
	ds_load_b128 v[88:91], v58 offset:256
	;; [unrolled: 1-line block ×4, first 2 shown]
	v_add_co_u32 v60, vcc_lo, 0x80, v60
	v_add_co_ci_u32_e32 v61, vcc_lo, 0, v61, vcc_lo
	v_add_co_u32 v62, vcc_lo, 0x80, v62
	v_add_co_ci_u32_e32 v63, vcc_lo, 0, v63, vcc_lo
	;; [unrolled: 2-line block ×4, first 2 shown]
	s_waitcnt lgkmcnt(4)
	v_dual_fmac_f32 v55, v80, v76 :: v_dual_fmac_f32 v28, v81, v78
	v_dual_fmac_f32 v49, v80, v77 :: v_dual_fmac_f32 v34, v81, v76
	;; [unrolled: 1-line block ×6, first 2 shown]
	s_waitcnt lgkmcnt(2)
	v_dual_fmac_f32 v25, v82, v77 :: v_dual_fmac_f32 v34, v85, v88
	v_dual_fmac_f32 v23, v82, v79 :: v_dual_fmac_f32 v28, v85, v90
	;; [unrolled: 1-line block ×4, first 2 shown]
	ds_load_b128 v[76:79], v57 offset:768
	ds_load_b128 v[80:83], v58 offset:768
	v_dual_fmac_f32 v55, v84, v88 :: v_dual_fmac_f32 v20, v87, v90
	v_dual_fmac_f32 v49, v84, v89 :: v_dual_fmac_f32 v22, v87, v88
	s_waitcnt lgkmcnt(2)
	v_dual_fmac_f32 v43, v84, v90 :: v_dual_fmac_f32 v34, v97, v92
	v_dual_fmac_f32 v37, v84, v91 :: v_dual_fmac_f32 v28, v97, v94
	;; [unrolled: 1-line block ×6, first 2 shown]
	v_fmac_f32_e32 v21, v87, v89
	v_fmac_f32_e32 v19, v87, v91
	ds_load_b128 v[84:87], v58 offset:1024
	ds_load_b128 v[88:91], v57 offset:1024
	s_waitcnt lgkmcnt(2)
	v_fmac_f32_e32 v28, v77, v82
	v_fmac_f32_e32 v34, v77, v80
	v_dual_fmac_f32 v55, v96, v92 :: v_dual_fmac_f32 v24, v78, v82
	v_dual_fmac_f32 v49, v96, v93 :: v_dual_fmac_f32 v26, v78, v80
	;; [unrolled: 1-line block ×4, first 2 shown]
	v_fmac_f32_e32 v33, v97, v93
	v_fmac_f32_e32 v27, v97, v95
	;; [unrolled: 1-line block ×6, first 2 shown]
	v_add_co_u32 v68, vcc_lo, 0x80, v68
	v_add_co_ci_u32_e32 v69, vcc_lo, 0, v69, vcc_lo
	s_waitcnt lgkmcnt(0)
	v_fmac_f32_e32 v22, v91, v84
	v_dual_fmac_f32 v34, v89, v84 :: v_dual_fmac_f32 v21, v99, v93
	v_dual_fmac_f32 v28, v89, v86 :: v_dual_fmac_f32 v19, v99, v95
	ds_load_b128 v[92:95], v57 offset:1280
	ds_load_b128 v[96:99], v58 offset:1280
	v_fmac_f32_e32 v26, v90, v84
	v_fmac_f32_e32 v24, v90, v86
	;; [unrolled: 1-line block ×4, first 2 shown]
	v_dual_fmac_f32 v33, v77, v81 :: v_dual_fmac_f32 v20, v91, v86
	v_fmac_f32_e32 v27, v77, v83
	v_add_co_u32 v70, vcc_lo, 0x80, v70
	v_add_co_ci_u32_e32 v71, vcc_lo, 0, v71, vcc_lo
	v_add_co_u32 v72, vcc_lo, 0x80, v72
	v_add_co_ci_u32_e32 v73, vcc_lo, 0, v73, vcc_lo
	;; [unrolled: 2-line block ×3, first 2 shown]
	s_waitcnt lgkmcnt(0)
	v_fmac_f32_e32 v20, v95, v98
	v_dual_fmac_f32 v34, v93, v96 :: v_dual_fmac_f32 v25, v78, v81
	v_dual_fmac_f32 v28, v93, v98 :: v_dual_fmac_f32 v23, v78, v83
	;; [unrolled: 1-line block ×4, first 2 shown]
	ds_load_b128 v[76:79], v58 offset:1536
	ds_load_b128 v[80:83], v57 offset:1536
	v_fmac_f32_e32 v22, v95, v96
	v_fmac_f32_e32 v55, v88, v84
	;; [unrolled: 1-line block ×3, first 2 shown]
	s_add_i32 s17, s17, 1
	s_delay_alu instid0(SALU_CYCLE_1)
	s_cmp_eq_u32 s31, s17
	s_waitcnt lgkmcnt(0)
	v_fmac_f32_e32 v22, v83, v76
	v_dual_fmac_f32 v34, v81, v76 :: v_dual_fmac_f32 v43, v88, v86
	v_dual_fmac_f32 v25, v90, v85 :: v_dual_fmac_f32 v28, v81, v78
	;; [unrolled: 1-line block ×3, first 2 shown]
	v_fmac_f32_e32 v33, v89, v85
	v_dual_fmac_f32 v21, v91, v85 :: v_dual_fmac_f32 v24, v82, v78
	v_fmac_f32_e32 v27, v89, v87
	v_fmac_f32_e32 v19, v91, v87
	v_dual_fmac_f32 v20, v83, v78 :: v_dual_fmac_f32 v23, v90, v87
	ds_load_b128 v[84:87], v57 offset:1792
	ds_load_b128 v[88:91], v58 offset:1792
	v_fmac_f32_e32 v21, v95, v97
	v_fmac_f32_e32 v19, v95, v99
	s_delay_alu instid0(VALU_DEP_2) | instskip(SKIP_1) | instid1(VALU_DEP_2)
	v_fmac_f32_e32 v21, v83, v77
	s_waitcnt lgkmcnt(0)
	v_dual_fmac_f32 v19, v83, v79 :: v_dual_fmac_f32 v34, v85, v88
	v_fmac_f32_e32 v28, v85, v90
	v_dual_fmac_f32 v26, v86, v88 :: v_dual_fmac_f32 v49, v92, v97
	v_dual_fmac_f32 v33, v93, v97 :: v_dual_fmac_f32 v24, v86, v90
	v_fmac_f32_e32 v55, v92, v96
	v_dual_fmac_f32 v27, v93, v99 :: v_dual_fmac_f32 v22, v87, v88
	v_fmac_f32_e32 v43, v92, v98
	;; [unrolled: 2-line block ×3, first 2 shown]
	v_fmac_f32_e32 v23, v94, v99
	ds_load_b128 v[92:95], v58 offset:2048
	ds_load_b128 v[96:99], v57 offset:2048
	v_fmac_f32_e32 v33, v81, v77
	v_fmac_f32_e32 v27, v81, v79
	;; [unrolled: 1-line block ×9, first 2 shown]
	s_waitcnt lgkmcnt(0)
	v_dual_fmac_f32 v19, v87, v91 :: v_dual_fmac_f32 v26, v98, v92
	v_fmac_f32_e32 v24, v98, v94
	v_dual_fmac_f32 v22, v99, v92 :: v_dual_fmac_f32 v49, v80, v77
	v_fmac_f32_e32 v43, v80, v78
	;; [unrolled: 2-line block ×3, first 2 shown]
	ds_load_b128 v[76:79], v57 offset:2304
	ds_load_b128 v[80:83], v58 offset:2304
	v_dual_fmac_f32 v43, v84, v90 :: v_dual_fmac_f32 v34, v97, v92
	v_fmac_f32_e32 v33, v97, v93
	v_dual_fmac_f32 v37, v84, v91 :: v_dual_fmac_f32 v28, v97, v94
	s_delay_alu instid0(VALU_DEP_3) | instskip(SKIP_2) | instid1(VALU_DEP_4)
	v_fmac_f32_e32 v43, v96, v94
	v_fmac_f32_e32 v27, v97, v95
	;; [unrolled: 1-line block ×7, first 2 shown]
	s_waitcnt lgkmcnt(0)
	v_dual_fmac_f32 v22, v79, v80 :: v_dual_fmac_f32 v49, v84, v89
	v_dual_fmac_f32 v20, v79, v82 :: v_dual_fmac_f32 v55, v84, v88
	ds_load_b128 v[84:87], v58 offset:2560
	ds_load_b128 v[88:91], v57 offset:2560
	v_fmac_f32_e32 v43, v76, v82
	v_fmac_f32_e32 v49, v96, v93
	;; [unrolled: 1-line block ×4, first 2 shown]
	ds_load_b128 v[92:95], v57 offset:2816
	ds_load_b128 v[96:99], v58 offset:2816
	v_dual_fmac_f32 v34, v77, v80 :: v_dual_fmac_f32 v49, v76, v81
	v_fmac_f32_e32 v33, v77, v81
	v_dual_fmac_f32 v55, v76, v80 :: v_dual_fmac_f32 v28, v77, v82
	v_dual_fmac_f32 v27, v77, v83 :: v_dual_fmac_f32 v26, v78, v80
	v_fmac_f32_e32 v25, v78, v81
	v_fmac_f32_e32 v24, v78, v82
	;; [unrolled: 1-line block ×5, first 2 shown]
	ds_load_b128 v[76:79], v58 offset:3072
	ds_load_b128 v[80:83], v57 offset:3072
	s_waitcnt lgkmcnt(4)
	v_fmac_f32_e32 v55, v88, v84
	v_fmac_f32_e32 v49, v88, v85
	v_fmac_f32_e32 v43, v88, v86
	v_dual_fmac_f32 v37, v88, v87 :: v_dual_fmac_f32 v34, v89, v84
	v_fmac_f32_e32 v33, v89, v85
	v_fmac_f32_e32 v28, v89, v86
	v_dual_fmac_f32 v27, v89, v87 :: v_dual_fmac_f32 v26, v90, v84
	v_fmac_f32_e32 v25, v90, v85
	v_fmac_f32_e32 v24, v90, v86
	v_dual_fmac_f32 v23, v90, v87 :: v_dual_fmac_f32 v22, v91, v84
	v_fmac_f32_e32 v21, v91, v85
	v_fmac_f32_e32 v20, v91, v86
	v_fmac_f32_e32 v19, v91, v87
	ds_load_b128 v[84:87], v57 offset:3328
	ds_load_b128 v[88:91], v58 offset:3328
	s_waitcnt lgkmcnt(4)
	v_fmac_f32_e32 v55, v92, v96
	v_fmac_f32_e32 v49, v92, v97
	v_fmac_f32_e32 v43, v92, v98
	v_dual_fmac_f32 v37, v92, v99 :: v_dual_fmac_f32 v34, v93, v96
	v_fmac_f32_e32 v33, v93, v97
	v_fmac_f32_e32 v28, v93, v98
	v_dual_fmac_f32 v27, v93, v99 :: v_dual_fmac_f32 v26, v94, v96
	v_fmac_f32_e32 v25, v94, v97
	v_fmac_f32_e32 v24, v94, v98
	v_dual_fmac_f32 v23, v94, v99 :: v_dual_fmac_f32 v22, v95, v96
	v_fmac_f32_e32 v21, v95, v97
	v_fmac_f32_e32 v20, v95, v98
	v_fmac_f32_e32 v19, v95, v99
	;; [unrolled: 16-line block ×20, first 2 shown]
	s_waitcnt lgkmcnt(2)
	v_fmac_f32_e32 v55, v80, v76
	v_fmac_f32_e32 v49, v80, v77
	;; [unrolled: 1-line block ×3, first 2 shown]
	v_dual_fmac_f32 v37, v80, v79 :: v_dual_fmac_f32 v34, v81, v76
	v_fmac_f32_e32 v33, v81, v77
	v_fmac_f32_e32 v28, v81, v78
	v_dual_fmac_f32 v27, v81, v79 :: v_dual_fmac_f32 v26, v82, v76
	v_fmac_f32_e32 v25, v82, v77
	v_fmac_f32_e32 v24, v82, v78
	;; [unrolled: 3-line block ×3, first 2 shown]
	v_fmac_f32_e32 v19, v83, v79
	s_waitcnt lgkmcnt(0)
	v_fmac_f32_e32 v55, v84, v88
	v_dual_fmac_f32 v22, v87, v88 :: v_dual_fmac_f32 v49, v84, v89
	v_fmac_f32_e32 v43, v84, v90
	v_dual_fmac_f32 v37, v84, v91 :: v_dual_fmac_f32 v34, v85, v88
	v_fmac_f32_e32 v33, v85, v89
	v_fmac_f32_e32 v28, v85, v90
	v_dual_fmac_f32 v27, v85, v91 :: v_dual_fmac_f32 v26, v86, v88
	v_fmac_f32_e32 v25, v86, v89
	v_fmac_f32_e32 v24, v86, v90
	v_fmac_f32_e32 v23, v86, v91
	v_fmac_f32_e32 v21, v87, v89
	v_fmac_f32_e32 v20, v87, v90
	v_fmac_f32_e32 v19, v87, v91
	s_barrier
	buffer_gl0_inv
	s_cbranch_scc1 .LBB35_204
.LBB35_3:                               ; =>This Inner Loop Header: Depth=1
	s_lshr_b32 s22, s17, 3
	v_mov_b32_e32 v17, 0
	s_mul_i32 s23, s22, 0xd2
	s_mul_hi_u32 s22, s22, 0xd2
	s_add_u32 s29, s20, s23
	s_addc_u32 s33, s21, s22
	s_bfe_u32 s22, s17, 0x10002
	s_and_b32 s23, s17, 3
	s_lshl_b32 s28, s22, 6
	s_and_saveexec_b32 s34, s0
	s_cbranch_execz .LBB35_26
; %bb.4:                                ;   in Loop: Header=BB35_3 Depth=1
	v_add_co_u32 v17, vcc_lo, s29, v1
	v_add_co_ci_u32_e32 v18, vcc_lo, s33, v2, vcc_lo
	s_mov_b32 s35, exec_lo
	global_load_u16 v76, v[17:18], off offset:208
	s_waitcnt vmcnt(0)
	v_lshrrev_b16 v77, 8, v76
	s_delay_alu instid0(VALU_DEP_1) | instskip(NEXT) | instid1(VALU_DEP_1)
	v_and_b32_e32 v77, 0xffff, v77
	v_lshrrev_b32_e32 v78, 7, v77
	v_bfe_u32 v79, v77, 2, 5
	v_perm_b32 v77, v77, v76, 0x6050400
	s_delay_alu instid0(VALU_DEP_3) | instskip(NEXT) | instid1(VALU_DEP_3)
	v_lshlrev_b32_e32 v76, 31, v78
	v_cmpx_lt_i32_e32 30, v79
	s_xor_b32 s35, exec_lo, s35
; %bb.5:                                ;   in Loop: Header=BB35_3 Depth=1
	v_lshlrev_b32_e32 v76, 31, v78
	v_lshlrev_b32_e32 v77, 13, v77
                                        ; implicit-def: $vgpr79
                                        ; implicit-def: $vgpr78
	s_delay_alu instid0(VALU_DEP_1)
	v_or3_b32 v76, v77, v76, 0x7f800000
                                        ; implicit-def: $vgpr77
; %bb.6:                                ;   in Loop: Header=BB35_3 Depth=1
	s_and_not1_saveexec_b32 s35, s35
	s_cbranch_execz .LBB35_14
; %bb.7:                                ;   in Loop: Header=BB35_3 Depth=1
	v_and_b32_e32 v80, 0x3ff, v77
	s_mov_b32 s36, exec_lo
	v_cmpx_ne_u32_e32 0, v79
	s_xor_b32 s36, exec_lo, s36
; %bb.8:                                ;   in Loop: Header=BB35_3 Depth=1
	v_lshlrev_b32_e32 v76, 31, v78
	v_lshlrev_b32_e32 v77, 23, v79
	;; [unrolled: 1-line block ×3, first 2 shown]
                                        ; implicit-def: $vgpr80
	s_delay_alu instid0(VALU_DEP_1) | instskip(NEXT) | instid1(VALU_DEP_1)
	v_or3_b32 v76, v77, v76, v78
                                        ; implicit-def: $vgpr77
                                        ; implicit-def: $vgpr78
	v_add_nc_u32_e32 v76, 0x38000000, v76
; %bb.9:                                ;   in Loop: Header=BB35_3 Depth=1
	s_and_not1_saveexec_b32 s36, s36
	s_cbranch_execz .LBB35_13
; %bb.10:                               ;   in Loop: Header=BB35_3 Depth=1
	s_mov_b32 s37, exec_lo
	v_cmpx_ne_u32_e32 0, v80
	s_xor_b32 s37, exec_lo, s37
; %bb.11:                               ;   in Loop: Header=BB35_3 Depth=1
	v_clz_i32_u32_e32 v76, v80
	v_lshlrev_b32_e32 v78, 31, v78
	s_delay_alu instid0(VALU_DEP_2) | instskip(SKIP_1) | instid1(VALU_DEP_2)
	v_xor_b32_e32 v79, 31, v76
	v_lshlrev_b32_e32 v76, 23, v76
	v_sub_nc_u32_e32 v79, 9, v79
	s_delay_alu instid0(VALU_DEP_1) | instskip(NEXT) | instid1(VALU_DEP_1)
	v_lshlrev_b32_e32 v77, v79, v77
	v_lshlrev_b32_e32 v77, 14, v77
	s_delay_alu instid0(VALU_DEP_1) | instskip(NEXT) | instid1(VALU_DEP_1)
	v_and_or_b32 v77, 0x7fc000, v77, v78
	v_sub_nc_u32_e32 v76, v77, v76
	s_delay_alu instid0(VALU_DEP_1)
	v_add_nc_u32_e32 v76, 0x43000000, v76
; %bb.12:                               ;   in Loop: Header=BB35_3 Depth=1
	s_and_not1_saveexec_b32 s37, s37
	s_delay_alu instid0(SALU_CYCLE_1)
	s_or_b32 exec_lo, exec_lo, s37
.LBB35_13:                              ;   in Loop: Header=BB35_3 Depth=1
	s_delay_alu instid0(SALU_CYCLE_1)
	s_or_b32 exec_lo, exec_lo, s36
.LBB35_14:                              ;   in Loop: Header=BB35_3 Depth=1
	s_delay_alu instid0(SALU_CYCLE_1) | instskip(SKIP_4) | instid1(VALU_DEP_2)
	s_or_b32 exec_lo, exec_lo, s35
	v_add_co_u32 v77, vcc_lo, v17, s28
	v_add_co_ci_u32_e32 v78, vcc_lo, 0, v18, vcc_lo
	s_lshl_b32 s35, s22, 5
	s_cmp_lt_i32 s23, 2
	v_sub_co_u32 v17, vcc_lo, v77, s35
	s_delay_alu instid0(VALU_DEP_2) | instskip(NEXT) | instid1(VALU_DEP_2)
	v_subrev_co_ci_u32_e32 v18, vcc_lo, 0, v78, vcc_lo
	v_add_co_u32 v79, vcc_lo, v17, v35
	s_delay_alu instid0(VALU_DEP_2)
	v_add_co_ci_u32_e32 v80, vcc_lo, 0, v18, vcc_lo
	global_load_u8 v79, v[79:80], off offset:128
	s_cbranch_scc1 .LBB35_17
; %bb.15:                               ;   in Loop: Header=BB35_3 Depth=1
	s_cmp_gt_i32 s23, 2
	s_cbranch_scc0 .LBB35_18
; %bb.16:                               ;   in Loop: Header=BB35_3 Depth=1
	v_add_co_u32 v80, vcc_lo, v77, v35
	v_add_co_ci_u32_e32 v81, vcc_lo, 0, v78, vcc_lo
	global_load_u8 v80, v[80:81], off offset:32
	s_waitcnt vmcnt(1)
	v_lshrrev_b32_e32 v81, 2, v79
	s_waitcnt vmcnt(0)
	v_lshrrev_b16 v80, 4, v80
	v_mov_b32_e32 v82, v38
	s_cbranch_execz .LBB35_19
	s_branch .LBB35_20
.LBB35_17:                              ;   in Loop: Header=BB35_3 Depth=1
                                        ; implicit-def: $vgpr82
                                        ; implicit-def: $vgpr80
                                        ; implicit-def: $vgpr81
	s_branch .LBB35_21
.LBB35_18:                              ;   in Loop: Header=BB35_3 Depth=1
                                        ; implicit-def: $vgpr80
                                        ; implicit-def: $vgpr81
	v_mov_b32_e32 v82, v38
.LBB35_19:                              ;   in Loop: Header=BB35_3 Depth=1
	v_add_co_u32 v80, vcc_lo, v77, v35
	v_add_co_ci_u32_e32 v81, vcc_lo, 0, v78, vcc_lo
	v_mov_b32_e32 v82, v39
	global_load_u8 v80, v[80:81], off
	s_waitcnt vmcnt(1)
	v_mov_b32_e32 v81, v79
	s_waitcnt vmcnt(0)
	v_lshrrev_b16 v80, 4, v80
.LBB35_20:                              ;   in Loop: Header=BB35_3 Depth=1
	s_cbranch_execnz .LBB35_25
.LBB35_21:                              ;   in Loop: Header=BB35_3 Depth=1
	s_cmp_eq_u32 s23, 1
	s_cbranch_scc1 .LBB35_23
; %bb.22:                               ;   in Loop: Header=BB35_3 Depth=1
	v_add_co_u32 v80, vcc_lo, v77, v35
	v_add_co_ci_u32_e32 v81, vcc_lo, 0, v78, vcc_lo
	global_load_u8 v80, v[80:81], off
	s_waitcnt vmcnt(1)
	v_lshlrev_b32_e32 v81, 4, v79
	s_waitcnt vmcnt(0)
	v_and_b32_e32 v80, 15, v80
	v_mov_b32_e32 v82, v36
	s_cbranch_execz .LBB35_24
	s_branch .LBB35_25
.LBB35_23:                              ;   in Loop: Header=BB35_3 Depth=1
                                        ; implicit-def: $vgpr80
                                        ; implicit-def: $vgpr81
	v_mov_b32_e32 v82, v36
.LBB35_24:                              ;   in Loop: Header=BB35_3 Depth=1
	v_add_co_u32 v77, vcc_lo, v77, v35
	v_add_co_ci_u32_e32 v78, vcc_lo, 0, v78, vcc_lo
	s_waitcnt vmcnt(0)
	v_dual_mov_b32 v82, v40 :: v_dual_lshlrev_b32 v81, 2, v79
	global_load_u8 v77, v[77:78], off offset:32
	s_waitcnt vmcnt(0)
	v_and_b32_e32 v80, 15, v77
.LBB35_25:                              ;   in Loop: Header=BB35_3 Depth=1
	v_mad_i64_i32 v[77:78], null, 0xffffffe8, s22, v[17:18]
	s_delay_alu instid0(VALU_DEP_1) | instskip(NEXT) | instid1(VALU_DEP_2)
	v_add_co_u32 v17, vcc_lo, v77, v82
	v_add_co_ci_u32_e32 v18, vcc_lo, 0, v78, vcc_lo
	global_load_i8 v17, v[17:18], off offset:192
	s_waitcnt vmcnt(0)
	v_cvt_f32_i32_e32 v17, v17
	s_delay_alu instid0(VALU_DEP_1) | instskip(NEXT) | instid1(VALU_DEP_1)
	v_dual_mul_f32 v17, v76, v17 :: v_dual_and_b32 v18, 0xff, v80
	v_and_or_b32 v18, v81, 48, v18
	s_delay_alu instid0(VALU_DEP_1) | instskip(NEXT) | instid1(VALU_DEP_1)
	v_subrev_nc_u32_e32 v18, 32, v18
	v_cvt_f32_i32_e32 v18, v18
	s_delay_alu instid0(VALU_DEP_1)
	v_mul_f32_e32 v17, v17, v18
.LBB35_26:                              ;   in Loop: Header=BB35_3 Depth=1
	s_or_b32 exec_lo, exec_lo, s34
	v_mov_b32_e32 v18, 0
	ds_store_b32 v42, v17
	s_and_saveexec_b32 s34, s1
	s_cbranch_execz .LBB35_49
; %bb.27:                               ;   in Loop: Header=BB35_3 Depth=1
	v_add_co_u32 v17, vcc_lo, s29, v3
	v_add_co_ci_u32_e32 v18, vcc_lo, s33, v4, vcc_lo
	s_mov_b32 s35, exec_lo
	global_load_u16 v76, v[17:18], off offset:208
	s_waitcnt vmcnt(0)
	v_lshrrev_b16 v77, 8, v76
	s_delay_alu instid0(VALU_DEP_1) | instskip(NEXT) | instid1(VALU_DEP_1)
	v_and_b32_e32 v77, 0xffff, v77
	v_lshrrev_b32_e32 v78, 7, v77
	v_bfe_u32 v79, v77, 2, 5
	v_perm_b32 v77, v77, v76, 0x6050400
	s_delay_alu instid0(VALU_DEP_3) | instskip(NEXT) | instid1(VALU_DEP_3)
	v_lshlrev_b32_e32 v76, 31, v78
	v_cmpx_lt_i32_e32 30, v79
	s_xor_b32 s35, exec_lo, s35
; %bb.28:                               ;   in Loop: Header=BB35_3 Depth=1
	v_lshlrev_b32_e32 v76, 31, v78
	v_lshlrev_b32_e32 v77, 13, v77
                                        ; implicit-def: $vgpr79
                                        ; implicit-def: $vgpr78
	s_delay_alu instid0(VALU_DEP_1)
	v_or3_b32 v76, v77, v76, 0x7f800000
                                        ; implicit-def: $vgpr77
; %bb.29:                               ;   in Loop: Header=BB35_3 Depth=1
	s_and_not1_saveexec_b32 s35, s35
	s_cbranch_execz .LBB35_37
; %bb.30:                               ;   in Loop: Header=BB35_3 Depth=1
	v_and_b32_e32 v80, 0x3ff, v77
	s_mov_b32 s36, exec_lo
	v_cmpx_ne_u32_e32 0, v79
	s_xor_b32 s36, exec_lo, s36
; %bb.31:                               ;   in Loop: Header=BB35_3 Depth=1
	v_lshlrev_b32_e32 v76, 31, v78
	v_lshlrev_b32_e32 v77, 23, v79
	;; [unrolled: 1-line block ×3, first 2 shown]
                                        ; implicit-def: $vgpr80
	s_delay_alu instid0(VALU_DEP_1) | instskip(NEXT) | instid1(VALU_DEP_1)
	v_or3_b32 v76, v77, v76, v78
                                        ; implicit-def: $vgpr77
                                        ; implicit-def: $vgpr78
	v_add_nc_u32_e32 v76, 0x38000000, v76
; %bb.32:                               ;   in Loop: Header=BB35_3 Depth=1
	s_and_not1_saveexec_b32 s36, s36
	s_cbranch_execz .LBB35_36
; %bb.33:                               ;   in Loop: Header=BB35_3 Depth=1
	s_mov_b32 s37, exec_lo
	v_cmpx_ne_u32_e32 0, v80
	s_xor_b32 s37, exec_lo, s37
; %bb.34:                               ;   in Loop: Header=BB35_3 Depth=1
	v_clz_i32_u32_e32 v76, v80
	v_lshlrev_b32_e32 v78, 31, v78
	s_delay_alu instid0(VALU_DEP_2) | instskip(SKIP_1) | instid1(VALU_DEP_2)
	v_xor_b32_e32 v79, 31, v76
	v_lshlrev_b32_e32 v76, 23, v76
	v_sub_nc_u32_e32 v79, 9, v79
	s_delay_alu instid0(VALU_DEP_1) | instskip(NEXT) | instid1(VALU_DEP_1)
	v_lshlrev_b32_e32 v77, v79, v77
	v_lshlrev_b32_e32 v77, 14, v77
	s_delay_alu instid0(VALU_DEP_1) | instskip(NEXT) | instid1(VALU_DEP_1)
	v_and_or_b32 v77, 0x7fc000, v77, v78
	v_sub_nc_u32_e32 v76, v77, v76
	s_delay_alu instid0(VALU_DEP_1)
	v_add_nc_u32_e32 v76, 0x43000000, v76
; %bb.35:                               ;   in Loop: Header=BB35_3 Depth=1
	s_and_not1_saveexec_b32 s37, s37
	s_delay_alu instid0(SALU_CYCLE_1)
	s_or_b32 exec_lo, exec_lo, s37
.LBB35_36:                              ;   in Loop: Header=BB35_3 Depth=1
	s_delay_alu instid0(SALU_CYCLE_1)
	s_or_b32 exec_lo, exec_lo, s36
.LBB35_37:                              ;   in Loop: Header=BB35_3 Depth=1
	s_delay_alu instid0(SALU_CYCLE_1) | instskip(SKIP_4) | instid1(VALU_DEP_2)
	s_or_b32 exec_lo, exec_lo, s35
	v_add_co_u32 v77, vcc_lo, v17, s28
	v_add_co_ci_u32_e32 v78, vcc_lo, 0, v18, vcc_lo
	s_lshl_b32 s35, s22, 5
	s_cmp_lt_i32 s23, 2
	v_sub_co_u32 v17, vcc_lo, v77, s35
	s_delay_alu instid0(VALU_DEP_2) | instskip(NEXT) | instid1(VALU_DEP_2)
	v_subrev_co_ci_u32_e32 v18, vcc_lo, 0, v78, vcc_lo
	v_add_co_u32 v79, vcc_lo, v17, v35
	s_delay_alu instid0(VALU_DEP_2)
	v_add_co_ci_u32_e32 v80, vcc_lo, 0, v18, vcc_lo
	global_load_u8 v79, v[79:80], off offset:128
	s_cbranch_scc1 .LBB35_40
; %bb.38:                               ;   in Loop: Header=BB35_3 Depth=1
	s_cmp_gt_i32 s23, 2
	s_cbranch_scc0 .LBB35_41
; %bb.39:                               ;   in Loop: Header=BB35_3 Depth=1
	v_add_co_u32 v80, vcc_lo, v77, v35
	v_add_co_ci_u32_e32 v81, vcc_lo, 0, v78, vcc_lo
	global_load_u8 v80, v[80:81], off offset:32
	s_waitcnt vmcnt(1)
	v_lshrrev_b32_e32 v81, 2, v79
	s_waitcnt vmcnt(0)
	v_lshrrev_b16 v80, 4, v80
	v_mov_b32_e32 v82, v38
	s_cbranch_execz .LBB35_42
	s_branch .LBB35_43
.LBB35_40:                              ;   in Loop: Header=BB35_3 Depth=1
                                        ; implicit-def: $vgpr82
                                        ; implicit-def: $vgpr80
                                        ; implicit-def: $vgpr81
	s_branch .LBB35_44
.LBB35_41:                              ;   in Loop: Header=BB35_3 Depth=1
                                        ; implicit-def: $vgpr80
                                        ; implicit-def: $vgpr81
	v_mov_b32_e32 v82, v38
.LBB35_42:                              ;   in Loop: Header=BB35_3 Depth=1
	v_add_co_u32 v80, vcc_lo, v77, v35
	v_add_co_ci_u32_e32 v81, vcc_lo, 0, v78, vcc_lo
	v_mov_b32_e32 v82, v39
	global_load_u8 v80, v[80:81], off
	s_waitcnt vmcnt(1)
	v_mov_b32_e32 v81, v79
	s_waitcnt vmcnt(0)
	v_lshrrev_b16 v80, 4, v80
.LBB35_43:                              ;   in Loop: Header=BB35_3 Depth=1
	s_cbranch_execnz .LBB35_48
.LBB35_44:                              ;   in Loop: Header=BB35_3 Depth=1
	s_cmp_lg_u32 s23, 1
	s_cbranch_scc0 .LBB35_46
; %bb.45:                               ;   in Loop: Header=BB35_3 Depth=1
	v_add_co_u32 v80, vcc_lo, v77, v35
	v_add_co_ci_u32_e32 v81, vcc_lo, 0, v78, vcc_lo
	global_load_u8 v80, v[80:81], off
	s_waitcnt vmcnt(1)
	v_lshlrev_b32_e32 v81, 4, v79
	s_waitcnt vmcnt(0)
	v_and_b32_e32 v80, 15, v80
	v_mov_b32_e32 v82, v36
	s_cbranch_execz .LBB35_47
	s_branch .LBB35_48
.LBB35_46:                              ;   in Loop: Header=BB35_3 Depth=1
                                        ; implicit-def: $vgpr80
                                        ; implicit-def: $vgpr81
	v_mov_b32_e32 v82, v36
.LBB35_47:                              ;   in Loop: Header=BB35_3 Depth=1
	v_add_co_u32 v77, vcc_lo, v77, v35
	v_add_co_ci_u32_e32 v78, vcc_lo, 0, v78, vcc_lo
	s_waitcnt vmcnt(0)
	v_dual_mov_b32 v82, v40 :: v_dual_lshlrev_b32 v81, 2, v79
	global_load_u8 v77, v[77:78], off offset:32
	s_waitcnt vmcnt(0)
	v_and_b32_e32 v80, 15, v77
.LBB35_48:                              ;   in Loop: Header=BB35_3 Depth=1
	v_mad_i64_i32 v[77:78], null, 0xffffffe8, s22, v[17:18]
	s_delay_alu instid0(VALU_DEP_1) | instskip(NEXT) | instid1(VALU_DEP_2)
	v_add_co_u32 v17, vcc_lo, v77, v82
	v_add_co_ci_u32_e32 v18, vcc_lo, 0, v78, vcc_lo
	global_load_i8 v17, v[17:18], off offset:192
	s_waitcnt vmcnt(0)
	v_cvt_f32_i32_e32 v17, v17
	s_delay_alu instid0(VALU_DEP_1) | instskip(NEXT) | instid1(VALU_DEP_1)
	v_dual_mul_f32 v17, v76, v17 :: v_dual_and_b32 v18, 0xff, v80
	v_and_or_b32 v18, v81, 48, v18
	s_delay_alu instid0(VALU_DEP_1) | instskip(NEXT) | instid1(VALU_DEP_1)
	v_subrev_nc_u32_e32 v18, 32, v18
	v_cvt_f32_i32_e32 v18, v18
	s_delay_alu instid0(VALU_DEP_1)
	v_mul_f32_e32 v18, v17, v18
.LBB35_49:                              ;   in Loop: Header=BB35_3 Depth=1
	s_or_b32 exec_lo, exec_lo, s34
	v_mov_b32_e32 v17, 0
	ds_store_b32 v45, v18
	s_and_saveexec_b32 s34, s2
	s_cbranch_execz .LBB35_72
; %bb.50:                               ;   in Loop: Header=BB35_3 Depth=1
	v_add_co_u32 v17, vcc_lo, s29, v5
	v_add_co_ci_u32_e32 v18, vcc_lo, s33, v6, vcc_lo
	s_mov_b32 s35, exec_lo
	global_load_u16 v76, v[17:18], off offset:208
	s_waitcnt vmcnt(0)
	v_lshrrev_b16 v77, 8, v76
	s_delay_alu instid0(VALU_DEP_1) | instskip(NEXT) | instid1(VALU_DEP_1)
	v_and_b32_e32 v77, 0xffff, v77
	v_lshrrev_b32_e32 v78, 7, v77
	v_bfe_u32 v79, v77, 2, 5
	v_perm_b32 v77, v77, v76, 0x6050400
	s_delay_alu instid0(VALU_DEP_3) | instskip(NEXT) | instid1(VALU_DEP_3)
	v_lshlrev_b32_e32 v76, 31, v78
	v_cmpx_lt_i32_e32 30, v79
	s_xor_b32 s35, exec_lo, s35
; %bb.51:                               ;   in Loop: Header=BB35_3 Depth=1
	v_lshlrev_b32_e32 v76, 31, v78
	v_lshlrev_b32_e32 v77, 13, v77
                                        ; implicit-def: $vgpr79
                                        ; implicit-def: $vgpr78
	s_delay_alu instid0(VALU_DEP_1)
	v_or3_b32 v76, v77, v76, 0x7f800000
                                        ; implicit-def: $vgpr77
; %bb.52:                               ;   in Loop: Header=BB35_3 Depth=1
	s_and_not1_saveexec_b32 s35, s35
	s_cbranch_execz .LBB35_60
; %bb.53:                               ;   in Loop: Header=BB35_3 Depth=1
	v_and_b32_e32 v80, 0x3ff, v77
	s_mov_b32 s36, exec_lo
	v_cmpx_ne_u32_e32 0, v79
	s_xor_b32 s36, exec_lo, s36
; %bb.54:                               ;   in Loop: Header=BB35_3 Depth=1
	v_lshlrev_b32_e32 v76, 31, v78
	v_lshlrev_b32_e32 v77, 23, v79
	;; [unrolled: 1-line block ×3, first 2 shown]
                                        ; implicit-def: $vgpr80
	s_delay_alu instid0(VALU_DEP_1) | instskip(NEXT) | instid1(VALU_DEP_1)
	v_or3_b32 v76, v77, v76, v78
                                        ; implicit-def: $vgpr77
                                        ; implicit-def: $vgpr78
	v_add_nc_u32_e32 v76, 0x38000000, v76
; %bb.55:                               ;   in Loop: Header=BB35_3 Depth=1
	s_and_not1_saveexec_b32 s36, s36
	s_cbranch_execz .LBB35_59
; %bb.56:                               ;   in Loop: Header=BB35_3 Depth=1
	s_mov_b32 s37, exec_lo
	v_cmpx_ne_u32_e32 0, v80
	s_xor_b32 s37, exec_lo, s37
; %bb.57:                               ;   in Loop: Header=BB35_3 Depth=1
	v_clz_i32_u32_e32 v76, v80
	v_lshlrev_b32_e32 v78, 31, v78
	s_delay_alu instid0(VALU_DEP_2) | instskip(SKIP_1) | instid1(VALU_DEP_2)
	v_xor_b32_e32 v79, 31, v76
	v_lshlrev_b32_e32 v76, 23, v76
	v_sub_nc_u32_e32 v79, 9, v79
	s_delay_alu instid0(VALU_DEP_1) | instskip(NEXT) | instid1(VALU_DEP_1)
	v_lshlrev_b32_e32 v77, v79, v77
	v_lshlrev_b32_e32 v77, 14, v77
	s_delay_alu instid0(VALU_DEP_1) | instskip(NEXT) | instid1(VALU_DEP_1)
	v_and_or_b32 v77, 0x7fc000, v77, v78
	v_sub_nc_u32_e32 v76, v77, v76
	s_delay_alu instid0(VALU_DEP_1)
	v_add_nc_u32_e32 v76, 0x43000000, v76
; %bb.58:                               ;   in Loop: Header=BB35_3 Depth=1
	s_and_not1_saveexec_b32 s37, s37
	s_delay_alu instid0(SALU_CYCLE_1)
	s_or_b32 exec_lo, exec_lo, s37
.LBB35_59:                              ;   in Loop: Header=BB35_3 Depth=1
	s_delay_alu instid0(SALU_CYCLE_1)
	s_or_b32 exec_lo, exec_lo, s36
.LBB35_60:                              ;   in Loop: Header=BB35_3 Depth=1
	s_delay_alu instid0(SALU_CYCLE_1) | instskip(SKIP_4) | instid1(VALU_DEP_2)
	s_or_b32 exec_lo, exec_lo, s35
	v_add_co_u32 v77, vcc_lo, v17, s28
	v_add_co_ci_u32_e32 v78, vcc_lo, 0, v18, vcc_lo
	s_lshl_b32 s35, s22, 5
	s_cmp_lt_i32 s23, 2
	v_sub_co_u32 v17, vcc_lo, v77, s35
	s_delay_alu instid0(VALU_DEP_2) | instskip(NEXT) | instid1(VALU_DEP_2)
	v_subrev_co_ci_u32_e32 v18, vcc_lo, 0, v78, vcc_lo
	v_add_co_u32 v79, vcc_lo, v17, v35
	s_delay_alu instid0(VALU_DEP_2)
	v_add_co_ci_u32_e32 v80, vcc_lo, 0, v18, vcc_lo
	global_load_u8 v79, v[79:80], off offset:128
	s_cbranch_scc1 .LBB35_63
; %bb.61:                               ;   in Loop: Header=BB35_3 Depth=1
	s_cmp_gt_i32 s23, 2
	s_cbranch_scc0 .LBB35_64
; %bb.62:                               ;   in Loop: Header=BB35_3 Depth=1
	v_add_co_u32 v80, vcc_lo, v77, v35
	v_add_co_ci_u32_e32 v81, vcc_lo, 0, v78, vcc_lo
	global_load_u8 v80, v[80:81], off offset:32
	s_waitcnt vmcnt(1)
	v_lshrrev_b32_e32 v81, 2, v79
	s_waitcnt vmcnt(0)
	v_lshrrev_b16 v80, 4, v80
	v_mov_b32_e32 v82, v38
	s_cbranch_execz .LBB35_65
	s_branch .LBB35_66
.LBB35_63:                              ;   in Loop: Header=BB35_3 Depth=1
                                        ; implicit-def: $vgpr82
                                        ; implicit-def: $vgpr80
                                        ; implicit-def: $vgpr81
	s_branch .LBB35_67
.LBB35_64:                              ;   in Loop: Header=BB35_3 Depth=1
                                        ; implicit-def: $vgpr80
                                        ; implicit-def: $vgpr81
	v_mov_b32_e32 v82, v38
.LBB35_65:                              ;   in Loop: Header=BB35_3 Depth=1
	v_add_co_u32 v80, vcc_lo, v77, v35
	v_add_co_ci_u32_e32 v81, vcc_lo, 0, v78, vcc_lo
	v_mov_b32_e32 v82, v39
	global_load_u8 v80, v[80:81], off
	s_waitcnt vmcnt(1)
	v_mov_b32_e32 v81, v79
	s_waitcnt vmcnt(0)
	v_lshrrev_b16 v80, 4, v80
.LBB35_66:                              ;   in Loop: Header=BB35_3 Depth=1
	s_cbranch_execnz .LBB35_71
.LBB35_67:                              ;   in Loop: Header=BB35_3 Depth=1
	s_cmp_lg_u32 s23, 1
	s_cbranch_scc0 .LBB35_69
; %bb.68:                               ;   in Loop: Header=BB35_3 Depth=1
	v_add_co_u32 v80, vcc_lo, v77, v35
	v_add_co_ci_u32_e32 v81, vcc_lo, 0, v78, vcc_lo
	global_load_u8 v80, v[80:81], off
	s_waitcnt vmcnt(1)
	v_lshlrev_b32_e32 v81, 4, v79
	s_waitcnt vmcnt(0)
	v_and_b32_e32 v80, 15, v80
	v_mov_b32_e32 v82, v36
	s_cbranch_execz .LBB35_70
	s_branch .LBB35_71
.LBB35_69:                              ;   in Loop: Header=BB35_3 Depth=1
                                        ; implicit-def: $vgpr80
                                        ; implicit-def: $vgpr81
	v_mov_b32_e32 v82, v36
.LBB35_70:                              ;   in Loop: Header=BB35_3 Depth=1
	v_add_co_u32 v77, vcc_lo, v77, v35
	v_add_co_ci_u32_e32 v78, vcc_lo, 0, v78, vcc_lo
	s_waitcnt vmcnt(0)
	v_dual_mov_b32 v82, v40 :: v_dual_lshlrev_b32 v81, 2, v79
	global_load_u8 v77, v[77:78], off offset:32
	s_waitcnt vmcnt(0)
	v_and_b32_e32 v80, 15, v77
.LBB35_71:                              ;   in Loop: Header=BB35_3 Depth=1
	v_mad_i64_i32 v[77:78], null, 0xffffffe8, s22, v[17:18]
	s_delay_alu instid0(VALU_DEP_1) | instskip(NEXT) | instid1(VALU_DEP_2)
	v_add_co_u32 v17, vcc_lo, v77, v82
	v_add_co_ci_u32_e32 v18, vcc_lo, 0, v78, vcc_lo
	global_load_i8 v17, v[17:18], off offset:192
	s_waitcnt vmcnt(0)
	v_cvt_f32_i32_e32 v17, v17
	s_delay_alu instid0(VALU_DEP_1) | instskip(NEXT) | instid1(VALU_DEP_1)
	v_dual_mul_f32 v17, v76, v17 :: v_dual_and_b32 v18, 0xff, v80
	v_and_or_b32 v18, v81, 48, v18
	s_delay_alu instid0(VALU_DEP_1) | instskip(NEXT) | instid1(VALU_DEP_1)
	v_subrev_nc_u32_e32 v18, 32, v18
	v_cvt_f32_i32_e32 v18, v18
	s_delay_alu instid0(VALU_DEP_1)
	v_mul_f32_e32 v17, v17, v18
.LBB35_72:                              ;   in Loop: Header=BB35_3 Depth=1
	s_or_b32 exec_lo, exec_lo, s34
	v_mov_b32_e32 v18, 0
	ds_store_b32 v47, v17
	s_and_saveexec_b32 s34, s3
	s_cbranch_execz .LBB35_95
; %bb.73:                               ;   in Loop: Header=BB35_3 Depth=1
	v_add_co_u32 v17, vcc_lo, s29, v7
	v_add_co_ci_u32_e32 v18, vcc_lo, s33, v8, vcc_lo
	s_mov_b32 s35, exec_lo
	global_load_u16 v76, v[17:18], off offset:208
	s_waitcnt vmcnt(0)
	v_lshrrev_b16 v77, 8, v76
	s_delay_alu instid0(VALU_DEP_1) | instskip(NEXT) | instid1(VALU_DEP_1)
	v_and_b32_e32 v77, 0xffff, v77
	v_lshrrev_b32_e32 v78, 7, v77
	v_bfe_u32 v79, v77, 2, 5
	v_perm_b32 v77, v77, v76, 0x6050400
	s_delay_alu instid0(VALU_DEP_3) | instskip(NEXT) | instid1(VALU_DEP_3)
	v_lshlrev_b32_e32 v76, 31, v78
	v_cmpx_lt_i32_e32 30, v79
	s_xor_b32 s35, exec_lo, s35
; %bb.74:                               ;   in Loop: Header=BB35_3 Depth=1
	v_lshlrev_b32_e32 v76, 31, v78
	v_lshlrev_b32_e32 v77, 13, v77
                                        ; implicit-def: $vgpr79
                                        ; implicit-def: $vgpr78
	s_delay_alu instid0(VALU_DEP_1)
	v_or3_b32 v76, v77, v76, 0x7f800000
                                        ; implicit-def: $vgpr77
; %bb.75:                               ;   in Loop: Header=BB35_3 Depth=1
	s_and_not1_saveexec_b32 s35, s35
	s_cbranch_execz .LBB35_83
; %bb.76:                               ;   in Loop: Header=BB35_3 Depth=1
	v_and_b32_e32 v80, 0x3ff, v77
	s_mov_b32 s36, exec_lo
	v_cmpx_ne_u32_e32 0, v79
	s_xor_b32 s36, exec_lo, s36
; %bb.77:                               ;   in Loop: Header=BB35_3 Depth=1
	v_lshlrev_b32_e32 v76, 31, v78
	v_lshlrev_b32_e32 v77, 23, v79
	;; [unrolled: 1-line block ×3, first 2 shown]
                                        ; implicit-def: $vgpr80
	s_delay_alu instid0(VALU_DEP_1) | instskip(NEXT) | instid1(VALU_DEP_1)
	v_or3_b32 v76, v77, v76, v78
                                        ; implicit-def: $vgpr77
                                        ; implicit-def: $vgpr78
	v_add_nc_u32_e32 v76, 0x38000000, v76
; %bb.78:                               ;   in Loop: Header=BB35_3 Depth=1
	s_and_not1_saveexec_b32 s36, s36
	s_cbranch_execz .LBB35_82
; %bb.79:                               ;   in Loop: Header=BB35_3 Depth=1
	s_mov_b32 s37, exec_lo
	v_cmpx_ne_u32_e32 0, v80
	s_xor_b32 s37, exec_lo, s37
; %bb.80:                               ;   in Loop: Header=BB35_3 Depth=1
	v_clz_i32_u32_e32 v76, v80
	v_lshlrev_b32_e32 v78, 31, v78
	s_delay_alu instid0(VALU_DEP_2) | instskip(SKIP_1) | instid1(VALU_DEP_2)
	v_xor_b32_e32 v79, 31, v76
	v_lshlrev_b32_e32 v76, 23, v76
	v_sub_nc_u32_e32 v79, 9, v79
	s_delay_alu instid0(VALU_DEP_1) | instskip(NEXT) | instid1(VALU_DEP_1)
	v_lshlrev_b32_e32 v77, v79, v77
	v_lshlrev_b32_e32 v77, 14, v77
	s_delay_alu instid0(VALU_DEP_1) | instskip(NEXT) | instid1(VALU_DEP_1)
	v_and_or_b32 v77, 0x7fc000, v77, v78
	v_sub_nc_u32_e32 v76, v77, v76
	s_delay_alu instid0(VALU_DEP_1)
	v_add_nc_u32_e32 v76, 0x43000000, v76
; %bb.81:                               ;   in Loop: Header=BB35_3 Depth=1
	s_and_not1_saveexec_b32 s37, s37
	s_delay_alu instid0(SALU_CYCLE_1)
	s_or_b32 exec_lo, exec_lo, s37
.LBB35_82:                              ;   in Loop: Header=BB35_3 Depth=1
	s_delay_alu instid0(SALU_CYCLE_1)
	s_or_b32 exec_lo, exec_lo, s36
.LBB35_83:                              ;   in Loop: Header=BB35_3 Depth=1
	s_delay_alu instid0(SALU_CYCLE_1) | instskip(SKIP_4) | instid1(VALU_DEP_2)
	s_or_b32 exec_lo, exec_lo, s35
	v_add_co_u32 v77, vcc_lo, v17, s28
	v_add_co_ci_u32_e32 v78, vcc_lo, 0, v18, vcc_lo
	s_lshl_b32 s35, s22, 5
	s_cmp_lt_i32 s23, 2
	v_sub_co_u32 v17, vcc_lo, v77, s35
	s_delay_alu instid0(VALU_DEP_2) | instskip(NEXT) | instid1(VALU_DEP_2)
	v_subrev_co_ci_u32_e32 v18, vcc_lo, 0, v78, vcc_lo
	v_add_co_u32 v79, vcc_lo, v17, v35
	s_delay_alu instid0(VALU_DEP_2)
	v_add_co_ci_u32_e32 v80, vcc_lo, 0, v18, vcc_lo
	global_load_u8 v79, v[79:80], off offset:128
	s_cbranch_scc1 .LBB35_86
; %bb.84:                               ;   in Loop: Header=BB35_3 Depth=1
	s_cmp_gt_i32 s23, 2
	s_cbranch_scc0 .LBB35_87
; %bb.85:                               ;   in Loop: Header=BB35_3 Depth=1
	v_add_co_u32 v80, vcc_lo, v77, v35
	v_add_co_ci_u32_e32 v81, vcc_lo, 0, v78, vcc_lo
	global_load_u8 v80, v[80:81], off offset:32
	s_waitcnt vmcnt(1)
	v_lshrrev_b32_e32 v81, 2, v79
	s_waitcnt vmcnt(0)
	v_lshrrev_b16 v80, 4, v80
	v_mov_b32_e32 v82, v38
	s_cbranch_execz .LBB35_88
	s_branch .LBB35_89
.LBB35_86:                              ;   in Loop: Header=BB35_3 Depth=1
                                        ; implicit-def: $vgpr82
                                        ; implicit-def: $vgpr80
                                        ; implicit-def: $vgpr81
	s_branch .LBB35_90
.LBB35_87:                              ;   in Loop: Header=BB35_3 Depth=1
                                        ; implicit-def: $vgpr80
                                        ; implicit-def: $vgpr81
	v_mov_b32_e32 v82, v38
.LBB35_88:                              ;   in Loop: Header=BB35_3 Depth=1
	v_add_co_u32 v80, vcc_lo, v77, v35
	v_add_co_ci_u32_e32 v81, vcc_lo, 0, v78, vcc_lo
	v_mov_b32_e32 v82, v39
	global_load_u8 v80, v[80:81], off
	s_waitcnt vmcnt(1)
	v_mov_b32_e32 v81, v79
	s_waitcnt vmcnt(0)
	v_lshrrev_b16 v80, 4, v80
.LBB35_89:                              ;   in Loop: Header=BB35_3 Depth=1
	s_cbranch_execnz .LBB35_94
.LBB35_90:                              ;   in Loop: Header=BB35_3 Depth=1
	s_cmp_lg_u32 s23, 1
	s_cbranch_scc0 .LBB35_92
; %bb.91:                               ;   in Loop: Header=BB35_3 Depth=1
	v_add_co_u32 v80, vcc_lo, v77, v35
	v_add_co_ci_u32_e32 v81, vcc_lo, 0, v78, vcc_lo
	global_load_u8 v80, v[80:81], off
	s_waitcnt vmcnt(1)
	v_lshlrev_b32_e32 v81, 4, v79
	s_waitcnt vmcnt(0)
	v_and_b32_e32 v80, 15, v80
	v_mov_b32_e32 v82, v36
	s_cbranch_execz .LBB35_93
	s_branch .LBB35_94
.LBB35_92:                              ;   in Loop: Header=BB35_3 Depth=1
                                        ; implicit-def: $vgpr80
                                        ; implicit-def: $vgpr81
	v_mov_b32_e32 v82, v36
.LBB35_93:                              ;   in Loop: Header=BB35_3 Depth=1
	v_add_co_u32 v77, vcc_lo, v77, v35
	v_add_co_ci_u32_e32 v78, vcc_lo, 0, v78, vcc_lo
	s_waitcnt vmcnt(0)
	v_dual_mov_b32 v82, v40 :: v_dual_lshlrev_b32 v81, 2, v79
	global_load_u8 v77, v[77:78], off offset:32
	s_waitcnt vmcnt(0)
	v_and_b32_e32 v80, 15, v77
.LBB35_94:                              ;   in Loop: Header=BB35_3 Depth=1
	v_mad_i64_i32 v[77:78], null, 0xffffffe8, s22, v[17:18]
	s_delay_alu instid0(VALU_DEP_1) | instskip(NEXT) | instid1(VALU_DEP_2)
	v_add_co_u32 v17, vcc_lo, v77, v82
	v_add_co_ci_u32_e32 v18, vcc_lo, 0, v78, vcc_lo
	global_load_i8 v17, v[17:18], off offset:192
	s_waitcnt vmcnt(0)
	v_cvt_f32_i32_e32 v17, v17
	s_delay_alu instid0(VALU_DEP_1) | instskip(NEXT) | instid1(VALU_DEP_1)
	v_dual_mul_f32 v17, v76, v17 :: v_dual_and_b32 v18, 0xff, v80
	v_and_or_b32 v18, v81, 48, v18
	s_delay_alu instid0(VALU_DEP_1) | instskip(NEXT) | instid1(VALU_DEP_1)
	v_subrev_nc_u32_e32 v18, 32, v18
	v_cvt_f32_i32_e32 v18, v18
	s_delay_alu instid0(VALU_DEP_1)
	v_mul_f32_e32 v18, v17, v18
.LBB35_95:                              ;   in Loop: Header=BB35_3 Depth=1
	s_or_b32 exec_lo, exec_lo, s34
	v_mov_b32_e32 v17, 0
	ds_store_b32 v50, v18
	s_and_saveexec_b32 s34, s4
	s_cbranch_execz .LBB35_118
; %bb.96:                               ;   in Loop: Header=BB35_3 Depth=1
	v_add_co_u32 v17, vcc_lo, s29, v9
	v_add_co_ci_u32_e32 v18, vcc_lo, s33, v10, vcc_lo
	s_mov_b32 s35, exec_lo
	global_load_u16 v76, v[17:18], off offset:208
	s_waitcnt vmcnt(0)
	v_lshrrev_b16 v77, 8, v76
	s_delay_alu instid0(VALU_DEP_1) | instskip(NEXT) | instid1(VALU_DEP_1)
	v_and_b32_e32 v77, 0xffff, v77
	v_lshrrev_b32_e32 v78, 7, v77
	v_bfe_u32 v79, v77, 2, 5
	v_perm_b32 v77, v77, v76, 0x6050400
	s_delay_alu instid0(VALU_DEP_3) | instskip(NEXT) | instid1(VALU_DEP_3)
	v_lshlrev_b32_e32 v76, 31, v78
	v_cmpx_lt_i32_e32 30, v79
	s_xor_b32 s35, exec_lo, s35
; %bb.97:                               ;   in Loop: Header=BB35_3 Depth=1
	v_lshlrev_b32_e32 v76, 31, v78
	v_lshlrev_b32_e32 v77, 13, v77
                                        ; implicit-def: $vgpr79
                                        ; implicit-def: $vgpr78
	s_delay_alu instid0(VALU_DEP_1)
	v_or3_b32 v76, v77, v76, 0x7f800000
                                        ; implicit-def: $vgpr77
; %bb.98:                               ;   in Loop: Header=BB35_3 Depth=1
	s_and_not1_saveexec_b32 s35, s35
	s_cbranch_execz .LBB35_106
; %bb.99:                               ;   in Loop: Header=BB35_3 Depth=1
	v_and_b32_e32 v80, 0x3ff, v77
	s_mov_b32 s36, exec_lo
	v_cmpx_ne_u32_e32 0, v79
	s_xor_b32 s36, exec_lo, s36
; %bb.100:                              ;   in Loop: Header=BB35_3 Depth=1
	v_lshlrev_b32_e32 v76, 31, v78
	v_lshlrev_b32_e32 v77, 23, v79
	;; [unrolled: 1-line block ×3, first 2 shown]
                                        ; implicit-def: $vgpr80
	s_delay_alu instid0(VALU_DEP_1) | instskip(NEXT) | instid1(VALU_DEP_1)
	v_or3_b32 v76, v77, v76, v78
                                        ; implicit-def: $vgpr77
                                        ; implicit-def: $vgpr78
	v_add_nc_u32_e32 v76, 0x38000000, v76
; %bb.101:                              ;   in Loop: Header=BB35_3 Depth=1
	s_and_not1_saveexec_b32 s36, s36
	s_cbranch_execz .LBB35_105
; %bb.102:                              ;   in Loop: Header=BB35_3 Depth=1
	s_mov_b32 s37, exec_lo
	v_cmpx_ne_u32_e32 0, v80
	s_xor_b32 s37, exec_lo, s37
; %bb.103:                              ;   in Loop: Header=BB35_3 Depth=1
	v_clz_i32_u32_e32 v76, v80
	v_lshlrev_b32_e32 v78, 31, v78
	s_delay_alu instid0(VALU_DEP_2) | instskip(SKIP_1) | instid1(VALU_DEP_2)
	v_xor_b32_e32 v79, 31, v76
	v_lshlrev_b32_e32 v76, 23, v76
	v_sub_nc_u32_e32 v79, 9, v79
	s_delay_alu instid0(VALU_DEP_1) | instskip(NEXT) | instid1(VALU_DEP_1)
	v_lshlrev_b32_e32 v77, v79, v77
	v_lshlrev_b32_e32 v77, 14, v77
	s_delay_alu instid0(VALU_DEP_1) | instskip(NEXT) | instid1(VALU_DEP_1)
	v_and_or_b32 v77, 0x7fc000, v77, v78
	v_sub_nc_u32_e32 v76, v77, v76
	s_delay_alu instid0(VALU_DEP_1)
	v_add_nc_u32_e32 v76, 0x43000000, v76
; %bb.104:                              ;   in Loop: Header=BB35_3 Depth=1
	s_and_not1_saveexec_b32 s37, s37
	s_delay_alu instid0(SALU_CYCLE_1)
	s_or_b32 exec_lo, exec_lo, s37
.LBB35_105:                             ;   in Loop: Header=BB35_3 Depth=1
	s_delay_alu instid0(SALU_CYCLE_1)
	s_or_b32 exec_lo, exec_lo, s36
.LBB35_106:                             ;   in Loop: Header=BB35_3 Depth=1
	s_delay_alu instid0(SALU_CYCLE_1) | instskip(SKIP_4) | instid1(VALU_DEP_2)
	s_or_b32 exec_lo, exec_lo, s35
	v_add_co_u32 v77, vcc_lo, v17, s28
	v_add_co_ci_u32_e32 v78, vcc_lo, 0, v18, vcc_lo
	s_lshl_b32 s35, s22, 5
	s_cmp_lt_i32 s23, 2
	v_sub_co_u32 v17, vcc_lo, v77, s35
	s_delay_alu instid0(VALU_DEP_2) | instskip(NEXT) | instid1(VALU_DEP_2)
	v_subrev_co_ci_u32_e32 v18, vcc_lo, 0, v78, vcc_lo
	v_add_co_u32 v79, vcc_lo, v17, v35
	s_delay_alu instid0(VALU_DEP_2)
	v_add_co_ci_u32_e32 v80, vcc_lo, 0, v18, vcc_lo
	global_load_u8 v79, v[79:80], off offset:128
	s_cbranch_scc1 .LBB35_109
; %bb.107:                              ;   in Loop: Header=BB35_3 Depth=1
	s_cmp_gt_i32 s23, 2
	s_cbranch_scc0 .LBB35_110
; %bb.108:                              ;   in Loop: Header=BB35_3 Depth=1
	v_add_co_u32 v80, vcc_lo, v77, v35
	v_add_co_ci_u32_e32 v81, vcc_lo, 0, v78, vcc_lo
	global_load_u8 v80, v[80:81], off offset:32
	s_waitcnt vmcnt(1)
	v_lshrrev_b32_e32 v81, 2, v79
	s_waitcnt vmcnt(0)
	v_lshrrev_b16 v80, 4, v80
	v_mov_b32_e32 v82, v38
	s_cbranch_execz .LBB35_111
	s_branch .LBB35_112
.LBB35_109:                             ;   in Loop: Header=BB35_3 Depth=1
                                        ; implicit-def: $vgpr82
                                        ; implicit-def: $vgpr80
                                        ; implicit-def: $vgpr81
	s_branch .LBB35_113
.LBB35_110:                             ;   in Loop: Header=BB35_3 Depth=1
                                        ; implicit-def: $vgpr80
                                        ; implicit-def: $vgpr81
	v_mov_b32_e32 v82, v38
.LBB35_111:                             ;   in Loop: Header=BB35_3 Depth=1
	v_add_co_u32 v80, vcc_lo, v77, v35
	v_add_co_ci_u32_e32 v81, vcc_lo, 0, v78, vcc_lo
	v_mov_b32_e32 v82, v39
	global_load_u8 v80, v[80:81], off
	s_waitcnt vmcnt(1)
	v_mov_b32_e32 v81, v79
	s_waitcnt vmcnt(0)
	v_lshrrev_b16 v80, 4, v80
.LBB35_112:                             ;   in Loop: Header=BB35_3 Depth=1
	s_cbranch_execnz .LBB35_117
.LBB35_113:                             ;   in Loop: Header=BB35_3 Depth=1
	s_cmp_lg_u32 s23, 1
	s_cbranch_scc0 .LBB35_115
; %bb.114:                              ;   in Loop: Header=BB35_3 Depth=1
	v_add_co_u32 v80, vcc_lo, v77, v35
	v_add_co_ci_u32_e32 v81, vcc_lo, 0, v78, vcc_lo
	global_load_u8 v80, v[80:81], off
	s_waitcnt vmcnt(1)
	v_lshlrev_b32_e32 v81, 4, v79
	s_waitcnt vmcnt(0)
	v_and_b32_e32 v80, 15, v80
	v_mov_b32_e32 v82, v36
	s_cbranch_execz .LBB35_116
	s_branch .LBB35_117
.LBB35_115:                             ;   in Loop: Header=BB35_3 Depth=1
                                        ; implicit-def: $vgpr80
                                        ; implicit-def: $vgpr81
	v_mov_b32_e32 v82, v36
.LBB35_116:                             ;   in Loop: Header=BB35_3 Depth=1
	v_add_co_u32 v77, vcc_lo, v77, v35
	v_add_co_ci_u32_e32 v78, vcc_lo, 0, v78, vcc_lo
	s_waitcnt vmcnt(0)
	v_dual_mov_b32 v82, v40 :: v_dual_lshlrev_b32 v81, 2, v79
	global_load_u8 v77, v[77:78], off offset:32
	s_waitcnt vmcnt(0)
	v_and_b32_e32 v80, 15, v77
.LBB35_117:                             ;   in Loop: Header=BB35_3 Depth=1
	v_mad_i64_i32 v[77:78], null, 0xffffffe8, s22, v[17:18]
	s_delay_alu instid0(VALU_DEP_1) | instskip(NEXT) | instid1(VALU_DEP_2)
	v_add_co_u32 v17, vcc_lo, v77, v82
	v_add_co_ci_u32_e32 v18, vcc_lo, 0, v78, vcc_lo
	global_load_i8 v17, v[17:18], off offset:192
	s_waitcnt vmcnt(0)
	v_cvt_f32_i32_e32 v17, v17
	s_delay_alu instid0(VALU_DEP_1) | instskip(NEXT) | instid1(VALU_DEP_1)
	v_dual_mul_f32 v17, v76, v17 :: v_dual_and_b32 v18, 0xff, v80
	v_and_or_b32 v18, v81, 48, v18
	s_delay_alu instid0(VALU_DEP_1) | instskip(NEXT) | instid1(VALU_DEP_1)
	v_subrev_nc_u32_e32 v18, 32, v18
	v_cvt_f32_i32_e32 v18, v18
	s_delay_alu instid0(VALU_DEP_1)
	v_mul_f32_e32 v17, v17, v18
.LBB35_118:                             ;   in Loop: Header=BB35_3 Depth=1
	s_or_b32 exec_lo, exec_lo, s34
	v_mov_b32_e32 v18, 0
	ds_store_b32 v42, v17 offset:128
	s_and_saveexec_b32 s34, s5
	s_cbranch_execz .LBB35_141
; %bb.119:                              ;   in Loop: Header=BB35_3 Depth=1
	v_add_co_u32 v17, vcc_lo, s29, v11
	v_add_co_ci_u32_e32 v18, vcc_lo, s33, v12, vcc_lo
	s_mov_b32 s35, exec_lo
	global_load_u16 v76, v[17:18], off offset:208
	s_waitcnt vmcnt(0)
	v_lshrrev_b16 v77, 8, v76
	s_delay_alu instid0(VALU_DEP_1) | instskip(NEXT) | instid1(VALU_DEP_1)
	v_and_b32_e32 v77, 0xffff, v77
	v_lshrrev_b32_e32 v78, 7, v77
	v_bfe_u32 v79, v77, 2, 5
	v_perm_b32 v77, v77, v76, 0x6050400
	s_delay_alu instid0(VALU_DEP_3) | instskip(NEXT) | instid1(VALU_DEP_3)
	v_lshlrev_b32_e32 v76, 31, v78
	v_cmpx_lt_i32_e32 30, v79
	s_xor_b32 s35, exec_lo, s35
; %bb.120:                              ;   in Loop: Header=BB35_3 Depth=1
	v_lshlrev_b32_e32 v76, 31, v78
	v_lshlrev_b32_e32 v77, 13, v77
                                        ; implicit-def: $vgpr79
                                        ; implicit-def: $vgpr78
	s_delay_alu instid0(VALU_DEP_1)
	v_or3_b32 v76, v77, v76, 0x7f800000
                                        ; implicit-def: $vgpr77
; %bb.121:                              ;   in Loop: Header=BB35_3 Depth=1
	s_and_not1_saveexec_b32 s35, s35
	s_cbranch_execz .LBB35_129
; %bb.122:                              ;   in Loop: Header=BB35_3 Depth=1
	v_and_b32_e32 v80, 0x3ff, v77
	s_mov_b32 s36, exec_lo
	v_cmpx_ne_u32_e32 0, v79
	s_xor_b32 s36, exec_lo, s36
; %bb.123:                              ;   in Loop: Header=BB35_3 Depth=1
	v_lshlrev_b32_e32 v76, 31, v78
	v_lshlrev_b32_e32 v77, 23, v79
	;; [unrolled: 1-line block ×3, first 2 shown]
                                        ; implicit-def: $vgpr80
	s_delay_alu instid0(VALU_DEP_1) | instskip(NEXT) | instid1(VALU_DEP_1)
	v_or3_b32 v76, v77, v76, v78
                                        ; implicit-def: $vgpr77
                                        ; implicit-def: $vgpr78
	v_add_nc_u32_e32 v76, 0x38000000, v76
; %bb.124:                              ;   in Loop: Header=BB35_3 Depth=1
	s_and_not1_saveexec_b32 s36, s36
	s_cbranch_execz .LBB35_128
; %bb.125:                              ;   in Loop: Header=BB35_3 Depth=1
	s_mov_b32 s37, exec_lo
	v_cmpx_ne_u32_e32 0, v80
	s_xor_b32 s37, exec_lo, s37
; %bb.126:                              ;   in Loop: Header=BB35_3 Depth=1
	v_clz_i32_u32_e32 v76, v80
	v_lshlrev_b32_e32 v78, 31, v78
	s_delay_alu instid0(VALU_DEP_2) | instskip(SKIP_1) | instid1(VALU_DEP_2)
	v_xor_b32_e32 v79, 31, v76
	v_lshlrev_b32_e32 v76, 23, v76
	v_sub_nc_u32_e32 v79, 9, v79
	s_delay_alu instid0(VALU_DEP_1) | instskip(NEXT) | instid1(VALU_DEP_1)
	v_lshlrev_b32_e32 v77, v79, v77
	v_lshlrev_b32_e32 v77, 14, v77
	s_delay_alu instid0(VALU_DEP_1) | instskip(NEXT) | instid1(VALU_DEP_1)
	v_and_or_b32 v77, 0x7fc000, v77, v78
	v_sub_nc_u32_e32 v76, v77, v76
	s_delay_alu instid0(VALU_DEP_1)
	v_add_nc_u32_e32 v76, 0x43000000, v76
; %bb.127:                              ;   in Loop: Header=BB35_3 Depth=1
	s_and_not1_saveexec_b32 s37, s37
	s_delay_alu instid0(SALU_CYCLE_1)
	s_or_b32 exec_lo, exec_lo, s37
.LBB35_128:                             ;   in Loop: Header=BB35_3 Depth=1
	s_delay_alu instid0(SALU_CYCLE_1)
	s_or_b32 exec_lo, exec_lo, s36
.LBB35_129:                             ;   in Loop: Header=BB35_3 Depth=1
	s_delay_alu instid0(SALU_CYCLE_1) | instskip(SKIP_4) | instid1(VALU_DEP_2)
	s_or_b32 exec_lo, exec_lo, s35
	v_add_co_u32 v77, vcc_lo, v17, s28
	v_add_co_ci_u32_e32 v78, vcc_lo, 0, v18, vcc_lo
	s_lshl_b32 s35, s22, 5
	s_cmp_lt_i32 s23, 2
	v_sub_co_u32 v17, vcc_lo, v77, s35
	s_delay_alu instid0(VALU_DEP_2) | instskip(NEXT) | instid1(VALU_DEP_2)
	v_subrev_co_ci_u32_e32 v18, vcc_lo, 0, v78, vcc_lo
	v_add_co_u32 v79, vcc_lo, v17, v35
	s_delay_alu instid0(VALU_DEP_2)
	v_add_co_ci_u32_e32 v80, vcc_lo, 0, v18, vcc_lo
	global_load_u8 v79, v[79:80], off offset:128
	s_cbranch_scc1 .LBB35_132
; %bb.130:                              ;   in Loop: Header=BB35_3 Depth=1
	s_cmp_gt_i32 s23, 2
	s_cbranch_scc0 .LBB35_133
; %bb.131:                              ;   in Loop: Header=BB35_3 Depth=1
	v_add_co_u32 v80, vcc_lo, v77, v35
	v_add_co_ci_u32_e32 v81, vcc_lo, 0, v78, vcc_lo
	global_load_u8 v80, v[80:81], off offset:32
	s_waitcnt vmcnt(1)
	v_lshrrev_b32_e32 v81, 2, v79
	s_waitcnt vmcnt(0)
	v_lshrrev_b16 v80, 4, v80
	v_mov_b32_e32 v82, v38
	s_cbranch_execz .LBB35_134
	s_branch .LBB35_135
.LBB35_132:                             ;   in Loop: Header=BB35_3 Depth=1
                                        ; implicit-def: $vgpr82
                                        ; implicit-def: $vgpr80
                                        ; implicit-def: $vgpr81
	s_branch .LBB35_136
.LBB35_133:                             ;   in Loop: Header=BB35_3 Depth=1
                                        ; implicit-def: $vgpr80
                                        ; implicit-def: $vgpr81
	v_mov_b32_e32 v82, v38
.LBB35_134:                             ;   in Loop: Header=BB35_3 Depth=1
	v_add_co_u32 v80, vcc_lo, v77, v35
	v_add_co_ci_u32_e32 v81, vcc_lo, 0, v78, vcc_lo
	v_mov_b32_e32 v82, v39
	global_load_u8 v80, v[80:81], off
	s_waitcnt vmcnt(1)
	v_mov_b32_e32 v81, v79
	s_waitcnt vmcnt(0)
	v_lshrrev_b16 v80, 4, v80
.LBB35_135:                             ;   in Loop: Header=BB35_3 Depth=1
	s_cbranch_execnz .LBB35_140
.LBB35_136:                             ;   in Loop: Header=BB35_3 Depth=1
	s_cmp_lg_u32 s23, 1
	s_cbranch_scc0 .LBB35_138
; %bb.137:                              ;   in Loop: Header=BB35_3 Depth=1
	v_add_co_u32 v80, vcc_lo, v77, v35
	v_add_co_ci_u32_e32 v81, vcc_lo, 0, v78, vcc_lo
	global_load_u8 v80, v[80:81], off
	s_waitcnt vmcnt(1)
	v_lshlrev_b32_e32 v81, 4, v79
	s_waitcnt vmcnt(0)
	v_and_b32_e32 v80, 15, v80
	v_mov_b32_e32 v82, v36
	s_cbranch_execz .LBB35_139
	s_branch .LBB35_140
.LBB35_138:                             ;   in Loop: Header=BB35_3 Depth=1
                                        ; implicit-def: $vgpr80
                                        ; implicit-def: $vgpr81
	v_mov_b32_e32 v82, v36
.LBB35_139:                             ;   in Loop: Header=BB35_3 Depth=1
	v_add_co_u32 v77, vcc_lo, v77, v35
	v_add_co_ci_u32_e32 v78, vcc_lo, 0, v78, vcc_lo
	s_waitcnt vmcnt(0)
	v_dual_mov_b32 v82, v40 :: v_dual_lshlrev_b32 v81, 2, v79
	global_load_u8 v77, v[77:78], off offset:32
	s_waitcnt vmcnt(0)
	v_and_b32_e32 v80, 15, v77
.LBB35_140:                             ;   in Loop: Header=BB35_3 Depth=1
	v_mad_i64_i32 v[77:78], null, 0xffffffe8, s22, v[17:18]
	s_delay_alu instid0(VALU_DEP_1) | instskip(NEXT) | instid1(VALU_DEP_2)
	v_add_co_u32 v17, vcc_lo, v77, v82
	v_add_co_ci_u32_e32 v18, vcc_lo, 0, v78, vcc_lo
	global_load_i8 v17, v[17:18], off offset:192
	s_waitcnt vmcnt(0)
	v_cvt_f32_i32_e32 v17, v17
	s_delay_alu instid0(VALU_DEP_1) | instskip(NEXT) | instid1(VALU_DEP_1)
	v_dual_mul_f32 v17, v76, v17 :: v_dual_and_b32 v18, 0xff, v80
	v_and_or_b32 v18, v81, 48, v18
	s_delay_alu instid0(VALU_DEP_1) | instskip(NEXT) | instid1(VALU_DEP_1)
	v_subrev_nc_u32_e32 v18, 32, v18
	v_cvt_f32_i32_e32 v18, v18
	s_delay_alu instid0(VALU_DEP_1)
	v_mul_f32_e32 v18, v17, v18
.LBB35_141:                             ;   in Loop: Header=BB35_3 Depth=1
	s_or_b32 exec_lo, exec_lo, s34
	v_mov_b32_e32 v17, 0
	ds_store_b32 v51, v18
	s_and_saveexec_b32 s34, s6
	s_cbranch_execz .LBB35_164
; %bb.142:                              ;   in Loop: Header=BB35_3 Depth=1
	v_add_co_u32 v17, vcc_lo, s29, v13
	v_add_co_ci_u32_e32 v18, vcc_lo, s33, v14, vcc_lo
	s_mov_b32 s35, exec_lo
	global_load_u16 v76, v[17:18], off offset:208
	s_waitcnt vmcnt(0)
	v_lshrrev_b16 v77, 8, v76
	s_delay_alu instid0(VALU_DEP_1) | instskip(NEXT) | instid1(VALU_DEP_1)
	v_and_b32_e32 v77, 0xffff, v77
	v_lshrrev_b32_e32 v78, 7, v77
	v_bfe_u32 v79, v77, 2, 5
	v_perm_b32 v77, v77, v76, 0x6050400
	s_delay_alu instid0(VALU_DEP_3) | instskip(NEXT) | instid1(VALU_DEP_3)
	v_lshlrev_b32_e32 v76, 31, v78
	v_cmpx_lt_i32_e32 30, v79
	s_xor_b32 s35, exec_lo, s35
; %bb.143:                              ;   in Loop: Header=BB35_3 Depth=1
	v_lshlrev_b32_e32 v76, 31, v78
	v_lshlrev_b32_e32 v77, 13, v77
                                        ; implicit-def: $vgpr79
                                        ; implicit-def: $vgpr78
	s_delay_alu instid0(VALU_DEP_1)
	v_or3_b32 v76, v77, v76, 0x7f800000
                                        ; implicit-def: $vgpr77
; %bb.144:                              ;   in Loop: Header=BB35_3 Depth=1
	s_and_not1_saveexec_b32 s35, s35
	s_cbranch_execz .LBB35_152
; %bb.145:                              ;   in Loop: Header=BB35_3 Depth=1
	v_and_b32_e32 v80, 0x3ff, v77
	s_mov_b32 s36, exec_lo
	v_cmpx_ne_u32_e32 0, v79
	s_xor_b32 s36, exec_lo, s36
; %bb.146:                              ;   in Loop: Header=BB35_3 Depth=1
	v_lshlrev_b32_e32 v76, 31, v78
	v_lshlrev_b32_e32 v77, 23, v79
	;; [unrolled: 1-line block ×3, first 2 shown]
                                        ; implicit-def: $vgpr80
	s_delay_alu instid0(VALU_DEP_1) | instskip(NEXT) | instid1(VALU_DEP_1)
	v_or3_b32 v76, v77, v76, v78
                                        ; implicit-def: $vgpr77
                                        ; implicit-def: $vgpr78
	v_add_nc_u32_e32 v76, 0x38000000, v76
; %bb.147:                              ;   in Loop: Header=BB35_3 Depth=1
	s_and_not1_saveexec_b32 s36, s36
	s_cbranch_execz .LBB35_151
; %bb.148:                              ;   in Loop: Header=BB35_3 Depth=1
	s_mov_b32 s37, exec_lo
	v_cmpx_ne_u32_e32 0, v80
	s_xor_b32 s37, exec_lo, s37
; %bb.149:                              ;   in Loop: Header=BB35_3 Depth=1
	v_clz_i32_u32_e32 v76, v80
	v_lshlrev_b32_e32 v78, 31, v78
	s_delay_alu instid0(VALU_DEP_2) | instskip(SKIP_1) | instid1(VALU_DEP_2)
	v_xor_b32_e32 v79, 31, v76
	v_lshlrev_b32_e32 v76, 23, v76
	v_sub_nc_u32_e32 v79, 9, v79
	s_delay_alu instid0(VALU_DEP_1) | instskip(NEXT) | instid1(VALU_DEP_1)
	v_lshlrev_b32_e32 v77, v79, v77
	v_lshlrev_b32_e32 v77, 14, v77
	s_delay_alu instid0(VALU_DEP_1) | instskip(NEXT) | instid1(VALU_DEP_1)
	v_and_or_b32 v77, 0x7fc000, v77, v78
	v_sub_nc_u32_e32 v76, v77, v76
	s_delay_alu instid0(VALU_DEP_1)
	v_add_nc_u32_e32 v76, 0x43000000, v76
; %bb.150:                              ;   in Loop: Header=BB35_3 Depth=1
	s_and_not1_saveexec_b32 s37, s37
	s_delay_alu instid0(SALU_CYCLE_1)
	s_or_b32 exec_lo, exec_lo, s37
.LBB35_151:                             ;   in Loop: Header=BB35_3 Depth=1
	s_delay_alu instid0(SALU_CYCLE_1)
	s_or_b32 exec_lo, exec_lo, s36
.LBB35_152:                             ;   in Loop: Header=BB35_3 Depth=1
	s_delay_alu instid0(SALU_CYCLE_1) | instskip(SKIP_4) | instid1(VALU_DEP_2)
	s_or_b32 exec_lo, exec_lo, s35
	v_add_co_u32 v77, vcc_lo, v17, s28
	v_add_co_ci_u32_e32 v78, vcc_lo, 0, v18, vcc_lo
	s_lshl_b32 s35, s22, 5
	s_cmp_lt_i32 s23, 2
	v_sub_co_u32 v17, vcc_lo, v77, s35
	s_delay_alu instid0(VALU_DEP_2) | instskip(NEXT) | instid1(VALU_DEP_2)
	v_subrev_co_ci_u32_e32 v18, vcc_lo, 0, v78, vcc_lo
	v_add_co_u32 v79, vcc_lo, v17, v35
	s_delay_alu instid0(VALU_DEP_2)
	v_add_co_ci_u32_e32 v80, vcc_lo, 0, v18, vcc_lo
	global_load_u8 v79, v[79:80], off offset:128
	s_cbranch_scc1 .LBB35_155
; %bb.153:                              ;   in Loop: Header=BB35_3 Depth=1
	s_cmp_gt_i32 s23, 2
	s_cbranch_scc0 .LBB35_156
; %bb.154:                              ;   in Loop: Header=BB35_3 Depth=1
	v_add_co_u32 v80, vcc_lo, v77, v35
	v_add_co_ci_u32_e32 v81, vcc_lo, 0, v78, vcc_lo
	global_load_u8 v80, v[80:81], off offset:32
	s_waitcnt vmcnt(1)
	v_lshrrev_b32_e32 v81, 2, v79
	s_waitcnt vmcnt(0)
	v_lshrrev_b16 v80, 4, v80
	v_mov_b32_e32 v82, v38
	s_cbranch_execz .LBB35_157
	s_branch .LBB35_158
.LBB35_155:                             ;   in Loop: Header=BB35_3 Depth=1
                                        ; implicit-def: $vgpr82
                                        ; implicit-def: $vgpr80
                                        ; implicit-def: $vgpr81
	s_branch .LBB35_159
.LBB35_156:                             ;   in Loop: Header=BB35_3 Depth=1
                                        ; implicit-def: $vgpr80
                                        ; implicit-def: $vgpr81
	v_mov_b32_e32 v82, v38
.LBB35_157:                             ;   in Loop: Header=BB35_3 Depth=1
	v_add_co_u32 v80, vcc_lo, v77, v35
	v_add_co_ci_u32_e32 v81, vcc_lo, 0, v78, vcc_lo
	v_mov_b32_e32 v82, v39
	global_load_u8 v80, v[80:81], off
	s_waitcnt vmcnt(1)
	v_mov_b32_e32 v81, v79
	s_waitcnt vmcnt(0)
	v_lshrrev_b16 v80, 4, v80
.LBB35_158:                             ;   in Loop: Header=BB35_3 Depth=1
	s_cbranch_execnz .LBB35_163
.LBB35_159:                             ;   in Loop: Header=BB35_3 Depth=1
	s_cmp_lg_u32 s23, 1
	s_cbranch_scc0 .LBB35_161
; %bb.160:                              ;   in Loop: Header=BB35_3 Depth=1
	v_add_co_u32 v80, vcc_lo, v77, v35
	v_add_co_ci_u32_e32 v81, vcc_lo, 0, v78, vcc_lo
	global_load_u8 v80, v[80:81], off
	s_waitcnt vmcnt(1)
	v_lshlrev_b32_e32 v81, 4, v79
	s_waitcnt vmcnt(0)
	v_and_b32_e32 v80, 15, v80
	v_mov_b32_e32 v82, v36
	s_cbranch_execz .LBB35_162
	s_branch .LBB35_163
.LBB35_161:                             ;   in Loop: Header=BB35_3 Depth=1
                                        ; implicit-def: $vgpr80
                                        ; implicit-def: $vgpr81
	v_mov_b32_e32 v82, v36
.LBB35_162:                             ;   in Loop: Header=BB35_3 Depth=1
	v_add_co_u32 v77, vcc_lo, v77, v35
	v_add_co_ci_u32_e32 v78, vcc_lo, 0, v78, vcc_lo
	s_waitcnt vmcnt(0)
	v_dual_mov_b32 v82, v40 :: v_dual_lshlrev_b32 v81, 2, v79
	global_load_u8 v77, v[77:78], off offset:32
	s_waitcnt vmcnt(0)
	v_and_b32_e32 v80, 15, v77
.LBB35_163:                             ;   in Loop: Header=BB35_3 Depth=1
	v_mad_i64_i32 v[77:78], null, 0xffffffe8, s22, v[17:18]
	s_delay_alu instid0(VALU_DEP_1) | instskip(NEXT) | instid1(VALU_DEP_2)
	v_add_co_u32 v17, vcc_lo, v77, v82
	v_add_co_ci_u32_e32 v18, vcc_lo, 0, v78, vcc_lo
	global_load_i8 v17, v[17:18], off offset:192
	s_waitcnt vmcnt(0)
	v_cvt_f32_i32_e32 v17, v17
	s_delay_alu instid0(VALU_DEP_1) | instskip(NEXT) | instid1(VALU_DEP_1)
	v_dual_mul_f32 v17, v76, v17 :: v_dual_and_b32 v18, 0xff, v80
	v_and_or_b32 v18, v81, 48, v18
	s_delay_alu instid0(VALU_DEP_1) | instskip(NEXT) | instid1(VALU_DEP_1)
	v_subrev_nc_u32_e32 v18, 32, v18
	v_cvt_f32_i32_e32 v18, v18
	s_delay_alu instid0(VALU_DEP_1)
	v_mul_f32_e32 v17, v17, v18
.LBB35_164:                             ;   in Loop: Header=BB35_3 Depth=1
	s_or_b32 exec_lo, exec_lo, s34
	v_mov_b32_e32 v18, 0
	ds_store_b32 v53, v17
	s_and_saveexec_b32 s34, s7
	s_cbranch_execz .LBB35_187
; %bb.165:                              ;   in Loop: Header=BB35_3 Depth=1
	v_add_co_u32 v17, vcc_lo, s29, v15
	v_add_co_ci_u32_e32 v18, vcc_lo, s33, v16, vcc_lo
	s_mov_b32 s29, exec_lo
	global_load_u16 v76, v[17:18], off offset:208
	s_waitcnt vmcnt(0)
	v_lshrrev_b16 v77, 8, v76
	s_delay_alu instid0(VALU_DEP_1) | instskip(NEXT) | instid1(VALU_DEP_1)
	v_and_b32_e32 v77, 0xffff, v77
	v_lshrrev_b32_e32 v78, 7, v77
	v_bfe_u32 v79, v77, 2, 5
	v_perm_b32 v77, v77, v76, 0x6050400
	s_delay_alu instid0(VALU_DEP_3) | instskip(NEXT) | instid1(VALU_DEP_3)
	v_lshlrev_b32_e32 v76, 31, v78
	v_cmpx_lt_i32_e32 30, v79
	s_xor_b32 s29, exec_lo, s29
; %bb.166:                              ;   in Loop: Header=BB35_3 Depth=1
	v_lshlrev_b32_e32 v76, 31, v78
	v_lshlrev_b32_e32 v77, 13, v77
                                        ; implicit-def: $vgpr79
                                        ; implicit-def: $vgpr78
	s_delay_alu instid0(VALU_DEP_1)
	v_or3_b32 v76, v77, v76, 0x7f800000
                                        ; implicit-def: $vgpr77
; %bb.167:                              ;   in Loop: Header=BB35_3 Depth=1
	s_and_not1_saveexec_b32 s29, s29
	s_cbranch_execz .LBB35_175
; %bb.168:                              ;   in Loop: Header=BB35_3 Depth=1
	v_and_b32_e32 v80, 0x3ff, v77
	s_mov_b32 s33, exec_lo
	v_cmpx_ne_u32_e32 0, v79
	s_xor_b32 s33, exec_lo, s33
; %bb.169:                              ;   in Loop: Header=BB35_3 Depth=1
	v_lshlrev_b32_e32 v76, 31, v78
	v_lshlrev_b32_e32 v77, 23, v79
	;; [unrolled: 1-line block ×3, first 2 shown]
                                        ; implicit-def: $vgpr80
	s_delay_alu instid0(VALU_DEP_1) | instskip(NEXT) | instid1(VALU_DEP_1)
	v_or3_b32 v76, v77, v76, v78
                                        ; implicit-def: $vgpr77
                                        ; implicit-def: $vgpr78
	v_add_nc_u32_e32 v76, 0x38000000, v76
; %bb.170:                              ;   in Loop: Header=BB35_3 Depth=1
	s_and_not1_saveexec_b32 s33, s33
	s_cbranch_execz .LBB35_174
; %bb.171:                              ;   in Loop: Header=BB35_3 Depth=1
	s_mov_b32 s35, exec_lo
	v_cmpx_ne_u32_e32 0, v80
	s_xor_b32 s35, exec_lo, s35
; %bb.172:                              ;   in Loop: Header=BB35_3 Depth=1
	v_clz_i32_u32_e32 v76, v80
	v_lshlrev_b32_e32 v78, 31, v78
	s_delay_alu instid0(VALU_DEP_2) | instskip(SKIP_1) | instid1(VALU_DEP_2)
	v_xor_b32_e32 v79, 31, v76
	v_lshlrev_b32_e32 v76, 23, v76
	v_sub_nc_u32_e32 v79, 9, v79
	s_delay_alu instid0(VALU_DEP_1) | instskip(NEXT) | instid1(VALU_DEP_1)
	v_lshlrev_b32_e32 v77, v79, v77
	v_lshlrev_b32_e32 v77, 14, v77
	s_delay_alu instid0(VALU_DEP_1) | instskip(NEXT) | instid1(VALU_DEP_1)
	v_and_or_b32 v77, 0x7fc000, v77, v78
	v_sub_nc_u32_e32 v76, v77, v76
	s_delay_alu instid0(VALU_DEP_1)
	v_add_nc_u32_e32 v76, 0x43000000, v76
; %bb.173:                              ;   in Loop: Header=BB35_3 Depth=1
	s_and_not1_saveexec_b32 s35, s35
	s_delay_alu instid0(SALU_CYCLE_1)
	s_or_b32 exec_lo, exec_lo, s35
.LBB35_174:                             ;   in Loop: Header=BB35_3 Depth=1
	s_delay_alu instid0(SALU_CYCLE_1)
	s_or_b32 exec_lo, exec_lo, s33
.LBB35_175:                             ;   in Loop: Header=BB35_3 Depth=1
	s_delay_alu instid0(SALU_CYCLE_1) | instskip(SKIP_4) | instid1(VALU_DEP_2)
	s_or_b32 exec_lo, exec_lo, s29
	v_add_co_u32 v77, vcc_lo, v17, s28
	v_add_co_ci_u32_e32 v78, vcc_lo, 0, v18, vcc_lo
	s_lshl_b32 s28, s22, 5
	s_cmp_lt_i32 s23, 2
	v_sub_co_u32 v17, vcc_lo, v77, s28
	s_delay_alu instid0(VALU_DEP_2) | instskip(NEXT) | instid1(VALU_DEP_2)
	v_subrev_co_ci_u32_e32 v18, vcc_lo, 0, v78, vcc_lo
	v_add_co_u32 v79, vcc_lo, v17, v35
	s_delay_alu instid0(VALU_DEP_2)
	v_add_co_ci_u32_e32 v80, vcc_lo, 0, v18, vcc_lo
	global_load_u8 v79, v[79:80], off offset:128
	s_cbranch_scc1 .LBB35_178
; %bb.176:                              ;   in Loop: Header=BB35_3 Depth=1
	s_cmp_gt_i32 s23, 2
	s_cbranch_scc0 .LBB35_179
; %bb.177:                              ;   in Loop: Header=BB35_3 Depth=1
	v_add_co_u32 v80, vcc_lo, v77, v35
	v_add_co_ci_u32_e32 v81, vcc_lo, 0, v78, vcc_lo
	global_load_u8 v80, v[80:81], off offset:32
	s_waitcnt vmcnt(1)
	v_lshrrev_b32_e32 v81, 2, v79
	s_waitcnt vmcnt(0)
	v_lshrrev_b16 v80, 4, v80
	v_mov_b32_e32 v82, v38
	s_cbranch_execz .LBB35_180
	s_branch .LBB35_181
.LBB35_178:                             ;   in Loop: Header=BB35_3 Depth=1
                                        ; implicit-def: $vgpr82
                                        ; implicit-def: $vgpr80
                                        ; implicit-def: $vgpr81
	s_branch .LBB35_182
.LBB35_179:                             ;   in Loop: Header=BB35_3 Depth=1
                                        ; implicit-def: $vgpr80
                                        ; implicit-def: $vgpr81
	v_mov_b32_e32 v82, v38
.LBB35_180:                             ;   in Loop: Header=BB35_3 Depth=1
	v_add_co_u32 v80, vcc_lo, v77, v35
	v_add_co_ci_u32_e32 v81, vcc_lo, 0, v78, vcc_lo
	v_mov_b32_e32 v82, v39
	global_load_u8 v80, v[80:81], off
	s_waitcnt vmcnt(1)
	v_mov_b32_e32 v81, v79
	s_waitcnt vmcnt(0)
	v_lshrrev_b16 v80, 4, v80
.LBB35_181:                             ;   in Loop: Header=BB35_3 Depth=1
	s_cbranch_execnz .LBB35_186
.LBB35_182:                             ;   in Loop: Header=BB35_3 Depth=1
	s_cmp_lg_u32 s23, 1
	s_cbranch_scc0 .LBB35_184
; %bb.183:                              ;   in Loop: Header=BB35_3 Depth=1
	v_add_co_u32 v80, vcc_lo, v77, v35
	v_add_co_ci_u32_e32 v81, vcc_lo, 0, v78, vcc_lo
	global_load_u8 v80, v[80:81], off
	s_waitcnt vmcnt(1)
	v_lshlrev_b32_e32 v81, 4, v79
	s_waitcnt vmcnt(0)
	v_and_b32_e32 v80, 15, v80
	v_mov_b32_e32 v82, v36
	s_cbranch_execz .LBB35_185
	s_branch .LBB35_186
.LBB35_184:                             ;   in Loop: Header=BB35_3 Depth=1
                                        ; implicit-def: $vgpr80
                                        ; implicit-def: $vgpr81
	v_mov_b32_e32 v82, v36
.LBB35_185:                             ;   in Loop: Header=BB35_3 Depth=1
	v_add_co_u32 v77, vcc_lo, v77, v35
	v_add_co_ci_u32_e32 v78, vcc_lo, 0, v78, vcc_lo
	s_waitcnt vmcnt(0)
	v_dual_mov_b32 v82, v40 :: v_dual_lshlrev_b32 v81, 2, v79
	global_load_u8 v77, v[77:78], off offset:32
	s_waitcnt vmcnt(0)
	v_and_b32_e32 v80, 15, v77
.LBB35_186:                             ;   in Loop: Header=BB35_3 Depth=1
	v_mad_i64_i32 v[77:78], null, 0xffffffe8, s22, v[17:18]
	s_delay_alu instid0(VALU_DEP_1) | instskip(NEXT) | instid1(VALU_DEP_2)
	v_add_co_u32 v17, vcc_lo, v77, v82
	v_add_co_ci_u32_e32 v18, vcc_lo, 0, v78, vcc_lo
	global_load_i8 v17, v[17:18], off offset:192
	s_waitcnt vmcnt(0)
	v_cvt_f32_i32_e32 v17, v17
	s_delay_alu instid0(VALU_DEP_1) | instskip(NEXT) | instid1(VALU_DEP_1)
	v_dual_mul_f32 v17, v76, v17 :: v_dual_and_b32 v18, 0xff, v80
	v_and_or_b32 v18, v81, 48, v18
	s_delay_alu instid0(VALU_DEP_1) | instskip(NEXT) | instid1(VALU_DEP_1)
	v_subrev_nc_u32_e32 v18, 32, v18
	v_cvt_f32_i32_e32 v18, v18
	s_delay_alu instid0(VALU_DEP_1)
	v_mul_f32_e32 v18, v17, v18
.LBB35_187:                             ;   in Loop: Header=BB35_3 Depth=1
	s_or_b32 exec_lo, exec_lo, s34
	v_dual_mov_b32 v17, 0 :: v_dual_mov_b32 v76, 0
	ds_store_b32 v56, v18
	s_and_saveexec_b32 s22, s8
	s_cbranch_execz .LBB35_189
; %bb.188:                              ;   in Loop: Header=BB35_3 Depth=1
	v_add_co_u32 v76, vcc_lo, v74, v59
	v_add_co_ci_u32_e32 v77, vcc_lo, 0, v75, vcc_lo
	global_load_b32 v76, v[76:77], off
.LBB35_189:                             ;   in Loop: Header=BB35_3 Depth=1
	s_or_b32 exec_lo, exec_lo, s22
	s_waitcnt vmcnt(0)
	ds_store_b32 v41, v76
	s_and_saveexec_b32 s22, s9
	s_cbranch_execz .LBB35_191
; %bb.190:                              ;   in Loop: Header=BB35_3 Depth=1
	v_add_co_u32 v17, vcc_lo, v72, v59
	v_add_co_ci_u32_e32 v18, vcc_lo, 0, v73, vcc_lo
	global_load_b32 v17, v[17:18], off
.LBB35_191:                             ;   in Loop: Header=BB35_3 Depth=1
	s_or_b32 exec_lo, exec_lo, s22
	v_mov_b32_e32 v18, 0
	v_mov_b32_e32 v76, 0
	s_waitcnt vmcnt(0)
	ds_store_b32 v44, v17
	s_and_saveexec_b32 s22, s10
	s_cbranch_execz .LBB35_193
; %bb.192:                              ;   in Loop: Header=BB35_3 Depth=1
	v_add_co_u32 v76, vcc_lo, v70, v59
	v_add_co_ci_u32_e32 v77, vcc_lo, 0, v71, vcc_lo
	global_load_b32 v76, v[76:77], off
.LBB35_193:                             ;   in Loop: Header=BB35_3 Depth=1
	s_or_b32 exec_lo, exec_lo, s22
	s_waitcnt vmcnt(0)
	ds_store_b32 v46, v76
	s_and_saveexec_b32 s22, s11
	s_cbranch_execz .LBB35_195
; %bb.194:                              ;   in Loop: Header=BB35_3 Depth=1
	v_add_co_u32 v17, vcc_lo, v68, v59
	v_add_co_ci_u32_e32 v18, vcc_lo, 0, v69, vcc_lo
	global_load_b32 v18, v[17:18], off
.LBB35_195:                             ;   in Loop: Header=BB35_3 Depth=1
	s_or_b32 exec_lo, exec_lo, s22
	v_dual_mov_b32 v17, 0 :: v_dual_mov_b32 v76, 0
	s_waitcnt vmcnt(0)
	ds_store_b32 v48, v18
	s_and_saveexec_b32 s22, s12
	s_cbranch_execz .LBB35_197
; %bb.196:                              ;   in Loop: Header=BB35_3 Depth=1
	v_add_co_u32 v76, vcc_lo, v66, v59
	v_add_co_ci_u32_e32 v77, vcc_lo, 0, v67, vcc_lo
	global_load_b32 v76, v[76:77], off
.LBB35_197:                             ;   in Loop: Header=BB35_3 Depth=1
	s_or_b32 exec_lo, exec_lo, s22
	s_waitcnt vmcnt(0)
	ds_store_b32 v41, v76 offset:128
	s_and_saveexec_b32 s22, s13
	s_cbranch_execz .LBB35_199
; %bb.198:                              ;   in Loop: Header=BB35_3 Depth=1
	v_add_co_u32 v17, vcc_lo, v64, v59
	v_add_co_ci_u32_e32 v18, vcc_lo, 0, v65, vcc_lo
	global_load_b32 v17, v[17:18], off
.LBB35_199:                             ;   in Loop: Header=BB35_3 Depth=1
	s_or_b32 exec_lo, exec_lo, s22
	v_mov_b32_e32 v18, 0
	v_mov_b32_e32 v76, 0
	s_waitcnt vmcnt(0)
	ds_store_b32 v0, v17
	s_and_saveexec_b32 s22, s14
	s_cbranch_execz .LBB35_201
; %bb.200:                              ;   in Loop: Header=BB35_3 Depth=1
	v_add_co_u32 v76, vcc_lo, v62, v59
	v_add_co_ci_u32_e32 v77, vcc_lo, 0, v63, vcc_lo
	global_load_b32 v76, v[76:77], off
.LBB35_201:                             ;   in Loop: Header=BB35_3 Depth=1
	s_or_b32 exec_lo, exec_lo, s22
	s_waitcnt vmcnt(0)
	ds_store_b32 v52, v76
	s_and_saveexec_b32 s22, s15
	s_cbranch_execz .LBB35_2
; %bb.202:                              ;   in Loop: Header=BB35_3 Depth=1
	v_add_co_u32 v17, vcc_lo, v60, v59
	v_add_co_ci_u32_e32 v18, vcc_lo, 0, v61, vcc_lo
	global_load_b32 v18, v[17:18], off
	s_branch .LBB35_2
.LBB35_203:
                                        ; implicit-def: $vgpr55
                                        ; implicit-def: $vgpr49
                                        ; implicit-def: $vgpr43
                                        ; implicit-def: $vgpr37
                                        ; implicit-def: $vgpr34
                                        ; implicit-def: $vgpr33
                                        ; implicit-def: $vgpr28
                                        ; implicit-def: $vgpr27
                                        ; implicit-def: $vgpr26
                                        ; implicit-def: $vgpr25
                                        ; implicit-def: $vgpr24
                                        ; implicit-def: $vgpr23
                                        ; implicit-def: $vgpr22
                                        ; implicit-def: $vgpr21
                                        ; implicit-def: $vgpr20
                                        ; implicit-def: $vgpr19
                                        ; implicit-def: $vgpr31
                                        ; implicit-def: $vgpr32
	s_cbranch_execnz .LBB35_205
	s_branch .LBB35_206
.LBB35_204:
	s_branch .LBB35_206
.LBB35_205:
	v_dual_mov_b32 v19, 0 :: v_dual_mov_b32 v32, v30
	v_dual_mov_b32 v31, v29 :: v_dual_mov_b32 v20, 0
	;; [unrolled: 1-line block ×7, first 2 shown]
	v_mov_b32_e32 v37, 0
	v_mov_b32_e32 v43, 0
	v_mov_b32_e32 v49, 0
	v_mov_b32_e32 v55, 0
.LBB35_206:
	v_add_nc_u32_e32 v5, s19, v31
	v_or_b32_e32 v4, s30, v32
	s_lshr_b32 s6, s26, 2
	s_cmp_lg_u32 s27, 0
	s_cselect_b32 s2, -1, 0
	v_cmp_gt_u32_e64 s4, s16, v5
	v_cmp_gt_u32_e64 s0, s18, v4
	v_add_nc_u32_e32 v0, s6, v5
	v_cndmask_b32_e64 v3, 0, 1, s2
	s_delay_alu instid0(VALU_DEP_3) | instskip(NEXT) | instid1(SALU_CYCLE_1)
	s_and_b32 s3, s4, s0
	s_and_saveexec_b32 s1, s3
	s_cbranch_execz .LBB35_210
; %bb.207:
	v_mad_u64_u32 v[1:2], null, v4, s16, v[0:1]
	v_mov_b32_e32 v2, 0
	s_delay_alu instid0(VALU_DEP_1) | instskip(NEXT) | instid1(VALU_DEP_1)
	v_lshlrev_b64 v[1:2], 2, v[1:2]
	v_add_co_u32 v1, vcc_lo, s24, v1
	s_delay_alu instid0(VALU_DEP_2)
	v_add_co_ci_u32_e32 v2, vcc_lo, s25, v2, vcc_lo
	s_and_not1_b32 vcc_lo, exec_lo, s2
	s_cbranch_vccnz .LBB35_209
; %bb.208:
	global_load_b32 v6, v[1:2], off
	s_waitcnt vmcnt(0)
	v_add_f32_e32 v55, v55, v6
.LBB35_209:
	global_store_b32 v[1:2], v55, off
.LBB35_210:
	s_or_b32 exec_lo, exec_lo, s1
	v_or_b32_e32 v6, 1, v4
	s_delay_alu instid0(VALU_DEP_1) | instskip(NEXT) | instid1(VALU_DEP_1)
	v_cmp_gt_u32_e64 s1, s18, v6
	s_and_b32 s2, s4, s1
	s_delay_alu instid0(SALU_CYCLE_1)
	s_and_saveexec_b32 s3, s2
	s_cbranch_execz .LBB35_214
; %bb.211:
	v_mad_u64_u32 v[1:2], null, v6, s16, v[0:1]
	v_mov_b32_e32 v2, 0
	v_cmp_ne_u32_e32 vcc_lo, 1, v3
	s_delay_alu instid0(VALU_DEP_2) | instskip(NEXT) | instid1(VALU_DEP_1)
	v_lshlrev_b64 v[1:2], 2, v[1:2]
	v_add_co_u32 v1, s2, s24, v1
	s_delay_alu instid0(VALU_DEP_1)
	v_add_co_ci_u32_e64 v2, s2, s25, v2, s2
	s_cbranch_vccnz .LBB35_213
; %bb.212:
	global_load_b32 v7, v[1:2], off
	s_waitcnt vmcnt(0)
	v_add_f32_e32 v49, v49, v7
.LBB35_213:
	global_store_b32 v[1:2], v49, off
.LBB35_214:
	s_or_b32 exec_lo, exec_lo, s3
	v_or_b32_e32 v7, 2, v4
	s_delay_alu instid0(VALU_DEP_1) | instskip(NEXT) | instid1(VALU_DEP_1)
	v_cmp_gt_u32_e64 s2, s18, v7
	s_and_b32 s3, s4, s2
	s_delay_alu instid0(SALU_CYCLE_1)
	s_and_saveexec_b32 s5, s3
	s_cbranch_execz .LBB35_218
; %bb.215:
	v_mad_u64_u32 v[1:2], null, v7, s16, v[0:1]
	v_mov_b32_e32 v2, 0
	v_cmp_ne_u32_e32 vcc_lo, 1, v3
	s_delay_alu instid0(VALU_DEP_2) | instskip(NEXT) | instid1(VALU_DEP_1)
	v_lshlrev_b64 v[1:2], 2, v[1:2]
	v_add_co_u32 v1, s3, s24, v1
	s_delay_alu instid0(VALU_DEP_1)
	v_add_co_ci_u32_e64 v2, s3, s25, v2, s3
	s_cbranch_vccnz .LBB35_217
; %bb.216:
	global_load_b32 v8, v[1:2], off
	s_waitcnt vmcnt(0)
	v_add_f32_e32 v43, v43, v8
.LBB35_217:
	global_store_b32 v[1:2], v43, off
.LBB35_218:
	;; [unrolled: 25-line block ×3, first 2 shown]
	s_or_b32 exec_lo, exec_lo, s5
	v_or_b32_e32 v0, 1, v5
	s_delay_alu instid0(VALU_DEP_1) | instskip(SKIP_1) | instid1(VALU_DEP_2)
	v_cmp_gt_u32_e64 s4, s16, v0
	v_add_nc_u32_e32 v0, s6, v0
	s_and_b32 s5, s4, s0
	s_delay_alu instid0(SALU_CYCLE_1)
	s_and_saveexec_b32 s7, s5
	s_cbranch_execnz .LBB35_226
; %bb.223:
	s_or_b32 exec_lo, exec_lo, s7
	s_and_b32 s5, s4, s1
	s_delay_alu instid0(SALU_CYCLE_1)
	s_and_saveexec_b32 s7, s5
	s_cbranch_execnz .LBB35_229
.LBB35_224:
	s_or_b32 exec_lo, exec_lo, s7
	s_and_b32 s5, s4, s2
	s_delay_alu instid0(SALU_CYCLE_1)
	s_and_saveexec_b32 s7, s5
	s_cbranch_execnz .LBB35_232
.LBB35_225:
	s_or_b32 exec_lo, exec_lo, s7
	s_and_b32 s4, s4, s3
	s_delay_alu instid0(SALU_CYCLE_1)
	s_and_saveexec_b32 s5, s4
	s_cbranch_execnz .LBB35_235
	s_branch .LBB35_238
.LBB35_226:
	s_delay_alu instid0(VALU_DEP_1) | instskip(SKIP_2) | instid1(VALU_DEP_2)
	v_mad_u64_u32 v[1:2], null, v4, s16, v[0:1]
	v_mov_b32_e32 v2, 0
	v_cmp_ne_u32_e32 vcc_lo, 1, v3
	v_lshlrev_b64 v[1:2], 2, v[1:2]
	s_delay_alu instid0(VALU_DEP_1) | instskip(NEXT) | instid1(VALU_DEP_1)
	v_add_co_u32 v1, s5, s24, v1
	v_add_co_ci_u32_e64 v2, s5, s25, v2, s5
	s_cbranch_vccnz .LBB35_228
; %bb.227:
	global_load_b32 v9, v[1:2], off
	s_waitcnt vmcnt(0)
	v_add_f32_e32 v34, v34, v9
.LBB35_228:
	global_store_b32 v[1:2], v34, off
	s_or_b32 exec_lo, exec_lo, s7
	s_and_b32 s5, s4, s1
	s_delay_alu instid0(SALU_CYCLE_1)
	s_and_saveexec_b32 s7, s5
	s_cbranch_execz .LBB35_224
.LBB35_229:
	v_mad_u64_u32 v[1:2], null, v6, s16, v[0:1]
	v_mov_b32_e32 v2, 0
	v_cmp_ne_u32_e32 vcc_lo, 1, v3
	s_delay_alu instid0(VALU_DEP_2) | instskip(NEXT) | instid1(VALU_DEP_1)
	v_lshlrev_b64 v[1:2], 2, v[1:2]
	v_add_co_u32 v1, s5, s24, v1
	s_delay_alu instid0(VALU_DEP_1)
	v_add_co_ci_u32_e64 v2, s5, s25, v2, s5
	s_cbranch_vccnz .LBB35_231
; %bb.230:
	global_load_b32 v9, v[1:2], off
	s_waitcnt vmcnt(0)
	v_add_f32_e32 v33, v33, v9
.LBB35_231:
	global_store_b32 v[1:2], v33, off
	s_or_b32 exec_lo, exec_lo, s7
	s_and_b32 s5, s4, s2
	s_delay_alu instid0(SALU_CYCLE_1)
	s_and_saveexec_b32 s7, s5
	s_cbranch_execz .LBB35_225
.LBB35_232:
	v_mad_u64_u32 v[1:2], null, v7, s16, v[0:1]
	v_mov_b32_e32 v2, 0
	v_cmp_ne_u32_e32 vcc_lo, 1, v3
	s_delay_alu instid0(VALU_DEP_2) | instskip(NEXT) | instid1(VALU_DEP_1)
	v_lshlrev_b64 v[1:2], 2, v[1:2]
	v_add_co_u32 v1, s5, s24, v1
	s_delay_alu instid0(VALU_DEP_1)
	v_add_co_ci_u32_e64 v2, s5, s25, v2, s5
	s_cbranch_vccnz .LBB35_234
; %bb.233:
	global_load_b32 v9, v[1:2], off
	s_waitcnt vmcnt(0)
	v_add_f32_e32 v28, v28, v9
.LBB35_234:
	global_store_b32 v[1:2], v28, off
	s_or_b32 exec_lo, exec_lo, s7
	s_and_b32 s4, s4, s3
	s_delay_alu instid0(SALU_CYCLE_1)
	s_and_saveexec_b32 s5, s4
	s_cbranch_execz .LBB35_238
.LBB35_235:
	v_mad_u64_u32 v[1:2], null, v8, s16, v[0:1]
	v_mov_b32_e32 v2, 0
	v_cmp_ne_u32_e32 vcc_lo, 1, v3
	s_delay_alu instid0(VALU_DEP_2) | instskip(NEXT) | instid1(VALU_DEP_1)
	v_lshlrev_b64 v[0:1], 2, v[1:2]
	v_add_co_u32 v0, s4, s24, v0
	s_delay_alu instid0(VALU_DEP_1)
	v_add_co_ci_u32_e64 v1, s4, s25, v1, s4
	s_cbranch_vccnz .LBB35_237
; %bb.236:
	global_load_b32 v2, v[0:1], off
	s_waitcnt vmcnt(0)
	v_add_f32_e32 v27, v27, v2
.LBB35_237:
	global_store_b32 v[0:1], v27, off
.LBB35_238:
	s_or_b32 exec_lo, exec_lo, s5
	v_or_b32_e32 v0, 2, v5
	s_delay_alu instid0(VALU_DEP_1) | instskip(SKIP_1) | instid1(VALU_DEP_2)
	v_cmp_gt_u32_e64 s4, s16, v0
	v_add_nc_u32_e32 v0, s6, v0
	s_and_b32 s5, s4, s0
	s_delay_alu instid0(SALU_CYCLE_1)
	s_and_saveexec_b32 s7, s5
	s_cbranch_execnz .LBB35_242
; %bb.239:
	s_or_b32 exec_lo, exec_lo, s7
	s_and_b32 s5, s4, s1
	s_delay_alu instid0(SALU_CYCLE_1)
	s_and_saveexec_b32 s7, s5
	s_cbranch_execnz .LBB35_245
.LBB35_240:
	s_or_b32 exec_lo, exec_lo, s7
	s_and_b32 s5, s4, s2
	s_delay_alu instid0(SALU_CYCLE_1)
	s_and_saveexec_b32 s7, s5
	s_cbranch_execnz .LBB35_248
.LBB35_241:
	s_or_b32 exec_lo, exec_lo, s7
	s_and_b32 s4, s4, s3
	s_delay_alu instid0(SALU_CYCLE_1)
	s_and_saveexec_b32 s5, s4
	s_cbranch_execnz .LBB35_251
	s_branch .LBB35_254
.LBB35_242:
	s_delay_alu instid0(VALU_DEP_1) | instskip(SKIP_2) | instid1(VALU_DEP_2)
	v_mad_u64_u32 v[1:2], null, v4, s16, v[0:1]
	v_mov_b32_e32 v2, 0
	v_cmp_ne_u32_e32 vcc_lo, 1, v3
	v_lshlrev_b64 v[1:2], 2, v[1:2]
	s_delay_alu instid0(VALU_DEP_1) | instskip(NEXT) | instid1(VALU_DEP_1)
	v_add_co_u32 v1, s5, s24, v1
	v_add_co_ci_u32_e64 v2, s5, s25, v2, s5
	s_cbranch_vccnz .LBB35_244
; %bb.243:
	global_load_b32 v9, v[1:2], off
	s_waitcnt vmcnt(0)
	v_add_f32_e32 v26, v26, v9
.LBB35_244:
	global_store_b32 v[1:2], v26, off
	s_or_b32 exec_lo, exec_lo, s7
	s_and_b32 s5, s4, s1
	s_delay_alu instid0(SALU_CYCLE_1)
	s_and_saveexec_b32 s7, s5
	s_cbranch_execz .LBB35_240
.LBB35_245:
	v_mad_u64_u32 v[1:2], null, v6, s16, v[0:1]
	v_mov_b32_e32 v2, 0
	v_cmp_ne_u32_e32 vcc_lo, 1, v3
	s_delay_alu instid0(VALU_DEP_2) | instskip(NEXT) | instid1(VALU_DEP_1)
	v_lshlrev_b64 v[1:2], 2, v[1:2]
	v_add_co_u32 v1, s5, s24, v1
	s_delay_alu instid0(VALU_DEP_1)
	v_add_co_ci_u32_e64 v2, s5, s25, v2, s5
	s_cbranch_vccnz .LBB35_247
; %bb.246:
	global_load_b32 v9, v[1:2], off
	s_waitcnt vmcnt(0)
	v_add_f32_e32 v25, v25, v9
.LBB35_247:
	global_store_b32 v[1:2], v25, off
	s_or_b32 exec_lo, exec_lo, s7
	s_and_b32 s5, s4, s2
	s_delay_alu instid0(SALU_CYCLE_1)
	s_and_saveexec_b32 s7, s5
	s_cbranch_execz .LBB35_241
.LBB35_248:
	v_mad_u64_u32 v[1:2], null, v7, s16, v[0:1]
	v_mov_b32_e32 v2, 0
	v_cmp_ne_u32_e32 vcc_lo, 1, v3
	s_delay_alu instid0(VALU_DEP_2) | instskip(NEXT) | instid1(VALU_DEP_1)
	v_lshlrev_b64 v[1:2], 2, v[1:2]
	v_add_co_u32 v1, s5, s24, v1
	s_delay_alu instid0(VALU_DEP_1)
	v_add_co_ci_u32_e64 v2, s5, s25, v2, s5
	s_cbranch_vccnz .LBB35_250
; %bb.249:
	global_load_b32 v9, v[1:2], off
	s_waitcnt vmcnt(0)
	v_add_f32_e32 v24, v24, v9
.LBB35_250:
	global_store_b32 v[1:2], v24, off
	s_or_b32 exec_lo, exec_lo, s7
	s_and_b32 s4, s4, s3
	s_delay_alu instid0(SALU_CYCLE_1)
	s_and_saveexec_b32 s5, s4
	s_cbranch_execz .LBB35_254
.LBB35_251:
	v_mad_u64_u32 v[1:2], null, v8, s16, v[0:1]
	v_mov_b32_e32 v2, 0
	v_cmp_ne_u32_e32 vcc_lo, 1, v3
	s_delay_alu instid0(VALU_DEP_2) | instskip(NEXT) | instid1(VALU_DEP_1)
	v_lshlrev_b64 v[0:1], 2, v[1:2]
	v_add_co_u32 v0, s4, s24, v0
	s_delay_alu instid0(VALU_DEP_1)
	v_add_co_ci_u32_e64 v1, s4, s25, v1, s4
	s_cbranch_vccnz .LBB35_253
; %bb.252:
	global_load_b32 v2, v[0:1], off
	s_waitcnt vmcnt(0)
	v_add_f32_e32 v23, v23, v2
.LBB35_253:
	global_store_b32 v[0:1], v23, off
.LBB35_254:
	s_or_b32 exec_lo, exec_lo, s5
	v_or_b32_e32 v0, 3, v5
	s_delay_alu instid0(VALU_DEP_1) | instskip(SKIP_1) | instid1(VALU_DEP_2)
	v_cmp_gt_u32_e64 s4, s16, v0
	v_add_nc_u32_e32 v0, s6, v0
	s_and_b32 s0, s4, s0
	s_delay_alu instid0(SALU_CYCLE_1)
	s_and_saveexec_b32 s5, s0
	s_cbranch_execnz .LBB35_259
; %bb.255:
	s_or_b32 exec_lo, exec_lo, s5
	s_and_b32 s0, s4, s1
	s_delay_alu instid0(SALU_CYCLE_1)
	s_and_saveexec_b32 s1, s0
	s_cbranch_execnz .LBB35_262
.LBB35_256:
	s_or_b32 exec_lo, exec_lo, s1
	s_and_b32 s0, s4, s2
	s_delay_alu instid0(SALU_CYCLE_1)
	s_and_saveexec_b32 s1, s0
	s_cbranch_execnz .LBB35_265
.LBB35_257:
	s_or_b32 exec_lo, exec_lo, s1
	s_and_b32 s0, s4, s3
	s_delay_alu instid0(SALU_CYCLE_1)
	s_and_saveexec_b32 s1, s0
	s_cbranch_execnz .LBB35_268
.LBB35_258:
	s_nop 0
	s_sendmsg sendmsg(MSG_DEALLOC_VGPRS)
	s_endpgm
.LBB35_259:
	s_delay_alu instid0(VALU_DEP_1) | instskip(SKIP_2) | instid1(VALU_DEP_2)
	v_mad_u64_u32 v[1:2], null, v4, s16, v[0:1]
	v_mov_b32_e32 v2, 0
	v_cmp_ne_u32_e32 vcc_lo, 1, v3
	v_lshlrev_b64 v[1:2], 2, v[1:2]
	s_delay_alu instid0(VALU_DEP_1) | instskip(NEXT) | instid1(VALU_DEP_1)
	v_add_co_u32 v1, s0, s24, v1
	v_add_co_ci_u32_e64 v2, s0, s25, v2, s0
	s_cbranch_vccnz .LBB35_261
; %bb.260:
	global_load_b32 v4, v[1:2], off
	s_waitcnt vmcnt(0)
	v_add_f32_e32 v22, v22, v4
.LBB35_261:
	global_store_b32 v[1:2], v22, off
	s_or_b32 exec_lo, exec_lo, s5
	s_and_b32 s0, s4, s1
	s_delay_alu instid0(SALU_CYCLE_1)
	s_and_saveexec_b32 s1, s0
	s_cbranch_execz .LBB35_256
.LBB35_262:
	v_mad_u64_u32 v[1:2], null, v6, s16, v[0:1]
	v_mov_b32_e32 v2, 0
	v_cmp_ne_u32_e32 vcc_lo, 1, v3
	s_delay_alu instid0(VALU_DEP_2) | instskip(NEXT) | instid1(VALU_DEP_1)
	v_lshlrev_b64 v[1:2], 2, v[1:2]
	v_add_co_u32 v1, s0, s24, v1
	s_delay_alu instid0(VALU_DEP_1)
	v_add_co_ci_u32_e64 v2, s0, s25, v2, s0
	s_cbranch_vccnz .LBB35_264
; %bb.263:
	global_load_b32 v4, v[1:2], off
	s_waitcnt vmcnt(0)
	v_add_f32_e32 v21, v21, v4
.LBB35_264:
	global_store_b32 v[1:2], v21, off
	s_or_b32 exec_lo, exec_lo, s1
	s_and_b32 s0, s4, s2
	s_delay_alu instid0(SALU_CYCLE_1)
	s_and_saveexec_b32 s1, s0
	s_cbranch_execz .LBB35_257
.LBB35_265:
	v_mad_u64_u32 v[1:2], null, v7, s16, v[0:1]
	v_mov_b32_e32 v2, 0
	v_cmp_ne_u32_e32 vcc_lo, 1, v3
	s_delay_alu instid0(VALU_DEP_2) | instskip(NEXT) | instid1(VALU_DEP_1)
	v_lshlrev_b64 v[1:2], 2, v[1:2]
	v_add_co_u32 v1, s0, s24, v1
	s_delay_alu instid0(VALU_DEP_1)
	v_add_co_ci_u32_e64 v2, s0, s25, v2, s0
	s_cbranch_vccnz .LBB35_267
; %bb.266:
	global_load_b32 v4, v[1:2], off
	s_waitcnt vmcnt(0)
	v_add_f32_e32 v20, v20, v4
.LBB35_267:
	global_store_b32 v[1:2], v20, off
	s_or_b32 exec_lo, exec_lo, s1
	s_and_b32 s0, s4, s3
	s_delay_alu instid0(SALU_CYCLE_1)
	s_and_saveexec_b32 s1, s0
	s_cbranch_execz .LBB35_258
.LBB35_268:
	v_mad_u64_u32 v[1:2], null, v8, s16, v[0:1]
	v_mov_b32_e32 v2, 0
	v_cmp_ne_u32_e32 vcc_lo, 1, v3
	s_delay_alu instid0(VALU_DEP_2) | instskip(NEXT) | instid1(VALU_DEP_1)
	v_lshlrev_b64 v[0:1], 2, v[1:2]
	v_add_co_u32 v0, s0, s24, v0
	s_delay_alu instid0(VALU_DEP_1)
	v_add_co_ci_u32_e64 v1, s0, s25, v1, s0
	s_cbranch_vccnz .LBB35_270
; %bb.269:
	global_load_b32 v2, v[0:1], off
	s_waitcnt vmcnt(0)
	v_add_f32_e32 v19, v19, v2
.LBB35_270:
	global_store_b32 v[0:1], v19, off
	s_nop 0
	s_sendmsg sendmsg(MSG_DEALLOC_VGPRS)
	s_endpgm
	.section	.rodata,"a",@progbits
	.p2align	6, 0x0
	.amdhsa_kernel gemm_q6k_tiled_v2
		.amdhsa_group_segment_fixed_size 16384
		.amdhsa_private_segment_fixed_size 0
		.amdhsa_kernarg_size 52
		.amdhsa_user_sgpr_count 14
		.amdhsa_user_sgpr_dispatch_ptr 0
		.amdhsa_user_sgpr_queue_ptr 0
		.amdhsa_user_sgpr_kernarg_segment_ptr 1
		.amdhsa_user_sgpr_dispatch_id 0
		.amdhsa_user_sgpr_private_segment_size 0
		.amdhsa_wavefront_size32 1
		.amdhsa_uses_dynamic_stack 0
		.amdhsa_enable_private_segment 0
		.amdhsa_system_sgpr_workgroup_id_x 1
		.amdhsa_system_sgpr_workgroup_id_y 1
		.amdhsa_system_sgpr_workgroup_id_z 0
		.amdhsa_system_sgpr_workgroup_info 0
		.amdhsa_system_vgpr_workitem_id 0
		.amdhsa_next_free_vgpr 100
		.amdhsa_next_free_sgpr 38
		.amdhsa_reserve_vcc 1
		.amdhsa_float_round_mode_32 0
		.amdhsa_float_round_mode_16_64 0
		.amdhsa_float_denorm_mode_32 3
		.amdhsa_float_denorm_mode_16_64 3
		.amdhsa_dx10_clamp 1
		.amdhsa_ieee_mode 1
		.amdhsa_fp16_overflow 0
		.amdhsa_workgroup_processor_mode 1
		.amdhsa_memory_ordered 1
		.amdhsa_forward_progress 0
		.amdhsa_shared_vgpr_count 0
		.amdhsa_exception_fp_ieee_invalid_op 0
		.amdhsa_exception_fp_denorm_src 0
		.amdhsa_exception_fp_ieee_div_zero 0
		.amdhsa_exception_fp_ieee_overflow 0
		.amdhsa_exception_fp_ieee_underflow 0
		.amdhsa_exception_fp_ieee_inexact 0
		.amdhsa_exception_int_div_zero 0
	.end_amdhsa_kernel
	.text
.Lfunc_end35:
	.size	gemm_q6k_tiled_v2, .Lfunc_end35-gemm_q6k_tiled_v2
                                        ; -- End function
	.section	.AMDGPU.csdata,"",@progbits
; Kernel info:
; codeLenInByte = 11684
; NumSgprs: 40
; NumVgprs: 100
; ScratchSize: 0
; MemoryBound: 0
; FloatMode: 240
; IeeeMode: 1
; LDSByteSize: 16384 bytes/workgroup (compile time only)
; SGPRBlocks: 4
; VGPRBlocks: 12
; NumSGPRsForWavesPerEU: 40
; NumVGPRsForWavesPerEU: 100
; Occupancy: 12
; WaveLimiterHint : 0
; COMPUTE_PGM_RSRC2:SCRATCH_EN: 0
; COMPUTE_PGM_RSRC2:USER_SGPR: 14
; COMPUTE_PGM_RSRC2:TRAP_HANDLER: 0
; COMPUTE_PGM_RSRC2:TGID_X_EN: 1
; COMPUTE_PGM_RSRC2:TGID_Y_EN: 1
; COMPUTE_PGM_RSRC2:TGID_Z_EN: 0
; COMPUTE_PGM_RSRC2:TIDIG_COMP_CNT: 0
	.text
	.protected	gemm_q5k_tiled_v2       ; -- Begin function gemm_q5k_tiled_v2
	.globl	gemm_q5k_tiled_v2
	.p2align	8
	.type	gemm_q5k_tiled_v2,@function
gemm_q5k_tiled_v2:                      ; @gemm_q5k_tiled_v2
; %bb.0:
	s_clause 0x3
	s_load_b128 s[20:23], s[0:1], 0x18
	s_load_b128 s[16:19], s[0:1], 0x0
	s_load_b64 s[24:25], s[0:1], 0x10
	s_load_b64 s[26:27], s[0:1], 0x2c
	v_lshrrev_b32_e32 v18, 4, v0
	v_and_b32_e32 v17, 15, v0
	s_waitcnt lgkmcnt(0)
	s_lshl_b32 s23, s14, 6
	s_lshl_b32 s30, s15, 6
	v_lshlrev_b32_e32 v29, 2, v18
	v_lshlrev_b32_e32 v31, 2, v17
	s_cmp_gt_u32 s21, 31
	s_cbranch_scc0 .LBB36_227
; %bb.1:
	v_and_b32_e32 v35, 31, v0
	v_add_nc_u32_e32 v2, 0x200, v0
	v_add_nc_u32_e32 v1, 0x100, v0
	v_lshrrev_b32_e32 v22, 5, v0
	v_add_nc_u32_e32 v6, 0x300, v0
	v_lshlrev_b32_e32 v15, 6, v35
	v_lshrrev_b32_e32 v25, 5, v2
	v_lshrrev_b32_e32 v24, 5, v1
	v_dual_mov_b32 v51, 0 :: v_dual_add_nc_u32 v10, 0x600, v0
	v_add_nc_u32_e32 v12, 0x700, v0
	s_delay_alu instid0(VALU_DEP_4)
	v_or_b32_e32 v8, v25, v15
	v_or_b32_e32 v3, s23, v22
	;; [unrolled: 1-line block ×5, first 2 shown]
	v_lshlrev_b32_e32 v42, 2, v8
	v_dual_mov_b32 v39, 0 :: v_dual_add_nc_u32 v8, 0x500, v0
	v_or_b32_e32 v7, s23, v25
	v_lshrrev_b32_e32 v26, 5, v6
	v_or_b32_e32 v20, 32, v22
	s_delay_alu instid0(VALU_DEP_4)
	v_lshrrev_b32_e32 v21, 5, v8
	v_lshrrev_b32_e32 v23, 5, v10
	;; [unrolled: 1-line block ×3, first 2 shown]
	s_load_b64 s[28:29], s[0:1], 0x24
	s_lshr_b32 s0, s21, 8
	v_lshlrev_b32_e32 v37, 2, v1
	s_mul_i32 s8, s0, 0xb0
	v_cmp_gt_u32_e64 s0, s20, v3
	v_mad_u64_u32 v[1:2], null, s8, v3, 0
	v_cmp_gt_u32_e64 s1, s20, v5
	v_lshlrev_b32_e32 v40, 2, v4
	v_mad_u64_u32 v[3:4], null, s8, v5, 0
	v_cmp_gt_u32_e64 s2, s20, v7
	v_mad_u64_u32 v[5:6], null, s8, v7, 0
	v_or_b32_e32 v9, s23, v26
	v_or_b32_e32 v7, v26, v15
	;; [unrolled: 1-line block ×3, first 2 shown]
	v_add_nc_u32_e32 v13, s23, v21
	v_add_nc_u32_e32 v16, s23, v23
	;; [unrolled: 1-line block ×3, first 2 shown]
	v_cmp_gt_u32_e64 s3, s20, v9
	v_dual_mov_b32 v45, 0 :: v_dual_lshlrev_b32 v44, 2, v7
	v_mad_u64_u32 v[7:8], null, s8, v9, 0
	v_cmp_gt_u32_e64 s4, s20, v11
	v_mad_u64_u32 v[9:10], null, s8, v11, 0
	v_cmp_gt_u32_e64 s5, s20, v13
	v_add_lshl_u32 v0, v21, v15, 2
	v_mad_u64_u32 v[11:12], null, s8, v13, 0
	v_add_lshl_u32 v48, v23, v15, 2
	v_cmp_gt_u32_e64 s6, s20, v16
	v_mad_u64_u32 v[13:14], null, s8, v16, 0
	v_cmp_gt_u32_e64 s7, s20, v28
	v_add_lshl_u32 v50, v27, v15, 2
	v_mad_u64_u32 v[15:16], null, s8, v28, 0
	v_or_b32_e32 v28, s30, v25
	v_or_b32_e32 v20, s30, v20
	v_add_nc_u32_e32 v27, s30, v27
	v_add_nc_u32_e32 v23, s30, v23
	v_dual_mov_b32 v19, 0 :: v_dual_lshlrev_b32 v30, 2, v18
	v_cmp_gt_u32_e64 s10, s22, v28
	v_add_nc_u32_e32 v28, s30, v21
	v_cmp_gt_u32_e64 s12, s22, v20
	v_mad_u64_u32 v[20:21], null, s21, v27, 0
	v_lshlrev_b32_e32 v32, 2, v17
	v_lshl_or_b32 v53, v18, 4, 0x2000
	v_lshlrev_b32_e32 v54, 4, v17
	v_mad_u64_u32 v[17:18], null, s21, v23, 0
	v_cmp_gt_u32_e64 s15, s22, v27
	v_add_nc_u32_e32 v27, s30, v22
	s_lshr_b32 s31, s21, 5
	v_or_b32_e32 v33, s30, v22
	v_cmp_gt_u32_e64 s14, s22, v23
	v_lshlrev_b64 v[20:21], 2, v[20:21]
	v_mad_u64_u32 v[22:23], null, s21, v28, 0
	s_waitcnt lgkmcnt(0)
	s_add_u32 s28, s16, s28
	s_addc_u32 s17, s17, 0
	s_and_b32 s16, s29, -4
	v_cmp_gt_u32_e64 s13, s22, v28
	v_add_nc_u32_e32 v28, 32, v27
	s_add_u32 s16, s18, s16
	v_lshlrev_b64 v[17:18], 2, v[17:18]
	s_addc_u32 s18, s19, 0
	v_add_co_u32 v56, vcc_lo, s16, v20
	v_add_co_ci_u32_e32 v57, vcc_lo, s18, v21, vcc_lo
	v_lshlrev_b64 v[20:21], 2, v[22:23]
	v_mad_u64_u32 v[22:23], null, s21, v28, 0
	v_cmp_gt_u32_e64 s8, s22, v33
	v_or_b32_e32 v33, s30, v26
	v_add_co_u32 v58, vcc_lo, s16, v17
	v_add_nc_u32_e32 v26, s30, v26
	v_add_co_ci_u32_e32 v59, vcc_lo, s18, v18, vcc_lo
	v_add_co_u32 v60, vcc_lo, s16, v20
	v_add_co_ci_u32_e32 v61, vcc_lo, s18, v21, vcc_lo
	v_add_nc_u32_e32 v25, s30, v25
	v_lshlrev_b64 v[17:18], 2, v[22:23]
	v_mad_u64_u32 v[20:21], null, s21, v26, 0
	v_or_b32_e32 v34, s30, v24
	v_add_nc_u32_e32 v24, s30, v24
	v_mad_u64_u32 v[22:23], null, s21, v25, 0
	v_add_co_u32 v62, vcc_lo, s16, v17
	v_add_co_ci_u32_e32 v63, vcc_lo, s18, v18, vcc_lo
	v_lshlrev_b64 v[17:18], 2, v[20:21]
	v_mad_u64_u32 v[20:21], null, s21, v24, 0
	v_mad_u64_u32 v[24:25], null, s21, v27, 0
	v_lshlrev_b64 v[22:23], 2, v[22:23]
	s_delay_alu instid0(VALU_DEP_4) | instskip(SKIP_2) | instid1(VALU_DEP_4)
	v_add_co_u32 v64, vcc_lo, s16, v17
	v_add_co_ci_u32_e32 v65, vcc_lo, s18, v18, vcc_lo
	v_lshlrev_b64 v[17:18], 2, v[20:21]
	v_add_co_u32 v66, vcc_lo, s16, v22
	v_lshlrev_b64 v[20:21], 2, v[24:25]
	v_add_co_ci_u32_e32 v67, vcc_lo, s18, v23, vcc_lo
	s_delay_alu instid0(VALU_DEP_4) | instskip(SKIP_1) | instid1(VALU_DEP_4)
	v_add_co_u32 v68, vcc_lo, s16, v17
	v_add_co_ci_u32_e32 v69, vcc_lo, s18, v18, vcc_lo
	v_add_co_u32 v70, vcc_lo, s16, v20
	v_or_b32_e32 v46, 0x2000, v44
	v_add_nc_u32_e32 v47, 0x2000, v0
	v_dual_mov_b32 v36, 0 :: v_dual_add_nc_u32 v49, 0x2000, v48
	v_add_nc_u32_e32 v52, 0x2000, v50
	v_cmp_gt_u32_e64 s9, s22, v34
	v_cmp_gt_u32_e64 s11, s22, v33
	v_add_co_ci_u32_e32 v71, vcc_lo, s18, v21, vcc_lo
	v_dual_mov_b32 v20, 0 :: v_dual_lshlrev_b32 v55, 2, v35
	v_dual_mov_b32 v21, 0 :: v_dual_mov_b32 v22, 0
	v_dual_mov_b32 v23, 0 :: v_dual_mov_b32 v24, 0
	v_mov_b32_e32 v25, 0
	v_or_b32_e32 v41, 0x2000, v40
	v_mov_b32_e32 v26, 0
	v_or_b32_e32 v38, 0x2000, v37
	v_dual_mov_b32 v27, 0 :: v_dual_mov_b32 v28, 0
	v_mov_b32_e32 v33, 0
	v_or_b32_e32 v43, 0x2000, v42
	v_mov_b32_e32 v34, 0
	s_mov_b32 s18, 0
	s_mov_b32 s19, 0
	s_branch .LBB36_3
.LBB36_2:                               ;   in Loop: Header=BB36_3 Depth=1
	s_or_b32 exec_lo, exec_lo, s16
	s_waitcnt vmcnt(0)
	ds_store_b32 v50, v18
	s_waitcnt lgkmcnt(0)
	s_barrier
	buffer_gl0_inv
	ds_load_b128 v[72:75], v54
	ds_load_b128 v[76:79], v53
	ds_load_b128 v[80:83], v53 offset:256
	ds_load_b128 v[84:87], v54 offset:256
	;; [unrolled: 1-line block ×4, first 2 shown]
	v_add_co_u32 v56, vcc_lo, 0x80, v56
	v_add_co_ci_u32_e32 v57, vcc_lo, 0, v57, vcc_lo
	v_add_co_u32 v58, vcc_lo, 0x80, v58
	v_add_co_ci_u32_e32 v59, vcc_lo, 0, v59, vcc_lo
	;; [unrolled: 2-line block ×4, first 2 shown]
	s_waitcnt lgkmcnt(4)
	v_dual_fmac_f32 v51, v76, v72 :: v_dual_fmac_f32 v28, v77, v74
	v_dual_fmac_f32 v45, v76, v73 :: v_dual_fmac_f32 v34, v77, v72
	;; [unrolled: 1-line block ×7, first 2 shown]
	s_waitcnt lgkmcnt(2)
	v_dual_fmac_f32 v21, v79, v73 :: v_dual_fmac_f32 v36, v80, v87
	v_dual_fmac_f32 v19, v79, v75 :: v_dual_fmac_f32 v34, v81, v84
	ds_load_b128 v[72:75], v53 offset:768
	ds_load_b128 v[76:79], v54 offset:768
	v_dual_fmac_f32 v51, v80, v84 :: v_dual_fmac_f32 v28, v81, v86
	v_dual_fmac_f32 v45, v80, v85 :: v_dual_fmac_f32 v26, v82, v84
	;; [unrolled: 1-line block ×5, first 2 shown]
	s_waitcnt lgkmcnt(2)
	v_dual_fmac_f32 v25, v82, v85 :: v_dual_fmac_f32 v36, v92, v91
	v_dual_fmac_f32 v23, v82, v87 :: v_dual_fmac_f32 v34, v93, v88
	;; [unrolled: 1-line block ×4, first 2 shown]
	ds_load_b128 v[80:83], v54 offset:1024
	ds_load_b128 v[84:87], v53 offset:1024
	v_dual_fmac_f32 v51, v92, v88 :: v_dual_fmac_f32 v24, v94, v90
	v_dual_fmac_f32 v45, v92, v89 :: v_dual_fmac_f32 v22, v95, v88
	s_waitcnt lgkmcnt(2)
	v_dual_fmac_f32 v39, v92, v90 :: v_dual_fmac_f32 v34, v73, v76
	v_dual_fmac_f32 v33, v93, v89 :: v_dual_fmac_f32 v20, v95, v90
	;; [unrolled: 1-line block ×6, first 2 shown]
	v_fmac_f32_e32 v19, v95, v91
	ds_load_b128 v[88:91], v53 offset:1280
	ds_load_b128 v[92:95], v54 offset:1280
	v_dual_fmac_f32 v51, v72, v76 :: v_dual_fmac_f32 v20, v75, v78
	v_dual_fmac_f32 v45, v72, v77 :: v_dual_fmac_f32 v22, v75, v76
	s_waitcnt lgkmcnt(2)
	v_dual_fmac_f32 v39, v72, v78 :: v_dual_fmac_f32 v26, v86, v80
	v_dual_fmac_f32 v33, v73, v77 :: v_dual_fmac_f32 v36, v84, v83
	;; [unrolled: 1-line block ×6, first 2 shown]
	v_fmac_f32_e32 v19, v75, v79
	ds_load_b128 v[72:75], v54 offset:1536
	ds_load_b128 v[76:79], v53 offset:1536
	v_dual_fmac_f32 v51, v84, v80 :: v_dual_fmac_f32 v20, v87, v82
	s_waitcnt lgkmcnt(2)
	v_dual_fmac_f32 v45, v84, v81 :: v_dual_fmac_f32 v28, v89, v94
	v_dual_fmac_f32 v39, v84, v82 :: v_dual_fmac_f32 v26, v90, v92
	;; [unrolled: 1-line block ×7, first 2 shown]
	v_fmac_f32_e32 v19, v87, v83
	ds_load_b128 v[80:83], v53 offset:1792
	ds_load_b128 v[84:87], v54 offset:1792
	s_waitcnt lgkmcnt(2)
	v_dual_fmac_f32 v51, v88, v92 :: v_dual_fmac_f32 v24, v78, v74
	v_dual_fmac_f32 v45, v88, v93 :: v_dual_fmac_f32 v26, v78, v72
	;; [unrolled: 1-line block ×4, first 2 shown]
	v_fmac_f32_e32 v27, v89, v95
	v_dual_fmac_f32 v36, v76, v75 :: v_dual_fmac_f32 v25, v90, v93
	v_dual_fmac_f32 v34, v77, v72 :: v_dual_fmac_f32 v23, v90, v95
	;; [unrolled: 1-line block ×3, first 2 shown]
	v_fmac_f32_e32 v19, v91, v95
	ds_load_b128 v[88:91], v54 offset:2048
	ds_load_b128 v[92:95], v53 offset:2048
	v_fmac_f32_e32 v51, v76, v72
	s_waitcnt lgkmcnt(2)
	v_dual_fmac_f32 v45, v76, v73 :: v_dual_fmac_f32 v22, v83, v84
	v_dual_fmac_f32 v34, v81, v84 :: v_dual_fmac_f32 v39, v76, v74
	v_fmac_f32_e32 v23, v78, v75
	v_dual_fmac_f32 v36, v80, v87 :: v_dual_fmac_f32 v33, v77, v73
	v_dual_fmac_f32 v28, v81, v86 :: v_dual_fmac_f32 v25, v78, v73
	;; [unrolled: 1-line block ×5, first 2 shown]
	v_add_co_u32 v64, vcc_lo, 0x80, v64
	v_add_co_ci_u32_e32 v65, vcc_lo, 0, v65, vcc_lo
	s_waitcnt lgkmcnt(0)
	s_delay_alu instid0(VALU_DEP_3)
	v_fmac_f32_e32 v20, v95, v90
	v_dual_fmac_f32 v34, v93, v88 :: v_dual_fmac_f32 v19, v79, v75
	ds_load_b128 v[72:75], v53 offset:2304
	ds_load_b128 v[76:79], v54 offset:2304
	v_dual_fmac_f32 v36, v92, v91 :: v_dual_fmac_f32 v33, v81, v85
	v_dual_fmac_f32 v28, v93, v90 :: v_dual_fmac_f32 v45, v80, v85
	;; [unrolled: 1-line block ×5, first 2 shown]
	v_fmac_f32_e32 v23, v82, v87
	v_add_co_u32 v66, vcc_lo, 0x80, v66
	v_add_co_ci_u32_e32 v67, vcc_lo, 0, v67, vcc_lo
	v_add_co_u32 v68, vcc_lo, 0x80, v68
	v_add_co_ci_u32_e32 v69, vcc_lo, 0, v69, vcc_lo
	s_waitcnt lgkmcnt(0)
	v_fmac_f32_e32 v20, v75, v78
	v_dual_fmac_f32 v36, v72, v79 :: v_dual_fmac_f32 v21, v83, v85
	v_dual_fmac_f32 v34, v73, v76 :: v_dual_fmac_f32 v19, v83, v87
	ds_load_b128 v[80:83], v54 offset:2560
	ds_load_b128 v[84:87], v53 offset:2560
	v_fmac_f32_e32 v28, v73, v78
	v_fmac_f32_e32 v26, v74, v76
	;; [unrolled: 1-line block ×3, first 2 shown]
	v_dual_fmac_f32 v45, v92, v89 :: v_dual_fmac_f32 v24, v74, v78
	v_fmac_f32_e32 v33, v93, v89
	v_dual_fmac_f32 v27, v93, v91 :: v_dual_fmac_f32 v22, v75, v76
	v_fmac_f32_e32 v39, v92, v90
	v_add_co_u32 v70, vcc_lo, 0x80, v70
	v_add_co_ci_u32_e32 v71, vcc_lo, 0, v71, vcc_lo
	s_add_i32 s19, s19, 1
	s_add_i32 s18, s18, 16
	s_cmp_eq_u32 s31, s19
	s_waitcnt lgkmcnt(0)
	v_fmac_f32_e32 v22, v87, v80
	v_dual_fmac_f32 v36, v84, v83 :: v_dual_fmac_f32 v25, v94, v89
	v_dual_fmac_f32 v34, v85, v80 :: v_dual_fmac_f32 v23, v94, v91
	;; [unrolled: 1-line block ×4, first 2 shown]
	ds_load_b128 v[88:91], v53 offset:2816
	ds_load_b128 v[92:95], v54 offset:2816
	v_dual_fmac_f32 v24, v86, v82 :: v_dual_fmac_f32 v51, v72, v76
	v_dual_fmac_f32 v45, v72, v77 :: v_dual_fmac_f32 v20, v87, v82
	s_waitcnt lgkmcnt(0)
	s_delay_alu instid0(VALU_DEP_1)
	v_dual_fmac_f32 v33, v73, v77 :: v_dual_fmac_f32 v20, v91, v94
	v_dual_fmac_f32 v36, v88, v95 :: v_dual_fmac_f32 v25, v74, v77
	v_dual_fmac_f32 v34, v89, v92 :: v_dual_fmac_f32 v39, v72, v78
	v_dual_fmac_f32 v28, v89, v94 :: v_dual_fmac_f32 v23, v74, v79
	v_dual_fmac_f32 v26, v90, v92 :: v_dual_fmac_f32 v27, v73, v79
	v_dual_fmac_f32 v19, v75, v79 :: v_dual_fmac_f32 v24, v90, v94
	v_fmac_f32_e32 v21, v75, v77
	ds_load_b128 v[72:75], v54 offset:3072
	ds_load_b128 v[76:79], v53 offset:3072
	v_fmac_f32_e32 v22, v91, v92
	v_fmac_f32_e32 v51, v84, v80
	;; [unrolled: 1-line block ×4, first 2 shown]
	s_delay_alu instid0(VALU_DEP_1)
	v_fmac_f32_e32 v19, v91, v95
	s_waitcnt lgkmcnt(0)
	v_dual_fmac_f32 v36, v76, v75 :: v_dual_fmac_f32 v33, v85, v81
	v_fmac_f32_e32 v34, v77, v72
	v_dual_fmac_f32 v28, v77, v74 :: v_dual_fmac_f32 v25, v86, v81
	v_dual_fmac_f32 v26, v78, v72 :: v_dual_fmac_f32 v39, v84, v82
	;; [unrolled: 1-line block ×3, first 2 shown]
	v_fmac_f32_e32 v21, v87, v81
	v_dual_fmac_f32 v22, v79, v72 :: v_dual_fmac_f32 v23, v86, v83
	ds_load_b128 v[80:83], v53 offset:3328
	ds_load_b128 v[84:87], v54 offset:3328
	v_dual_fmac_f32 v20, v79, v74 :: v_dual_fmac_f32 v51, v88, v92
	v_fmac_f32_e32 v21, v91, v93
	v_fmac_f32_e32 v19, v79, v75
	s_waitcnt lgkmcnt(0)
	s_delay_alu instid0(VALU_DEP_2)
	v_dual_fmac_f32 v21, v79, v73 :: v_dual_fmac_f32 v36, v80, v87
	v_dual_fmac_f32 v28, v81, v86 :: v_dual_fmac_f32 v45, v88, v93
	;; [unrolled: 1-line block ×6, first 2 shown]
	v_fmac_f32_e32 v25, v90, v93
	ds_load_b128 v[88:91], v54 offset:3584
	ds_load_b128 v[92:95], v53 offset:3584
	v_dual_fmac_f32 v34, v81, v84 :: v_dual_fmac_f32 v23, v78, v75
	v_fmac_f32_e32 v21, v83, v85
	v_fmac_f32_e32 v19, v83, v87
	s_waitcnt lgkmcnt(0)
	s_delay_alu instid0(VALU_DEP_3)
	v_dual_fmac_f32 v23, v82, v87 :: v_dual_fmac_f32 v28, v93, v90
	v_dual_fmac_f32 v26, v94, v88 :: v_dual_fmac_f32 v45, v76, v73
	;; [unrolled: 1-line block ×5, first 2 shown]
	v_fmac_f32_e32 v33, v77, v73
	v_fmac_f32_e32 v25, v78, v73
	ds_load_b128 v[72:75], v53 offset:3840
	ds_load_b128 v[76:79], v54 offset:3840
	v_fmac_f32_e32 v27, v81, v87
	v_fmac_f32_e32 v36, v92, v91
	v_dual_fmac_f32 v34, v93, v88 :: v_dual_fmac_f32 v25, v82, v85
	v_fmac_f32_e32 v23, v94, v91
	s_delay_alu instid0(VALU_DEP_4)
	v_fmac_f32_e32 v27, v93, v91
	v_fmac_f32_e32 v21, v95, v89
	;; [unrolled: 1-line block ×4, first 2 shown]
	s_waitcnt lgkmcnt(0)
	v_fmac_f32_e32 v26, v74, v76
	v_fmac_f32_e32 v24, v74, v78
	v_dual_fmac_f32 v22, v75, v76 :: v_dual_fmac_f32 v45, v80, v85
	v_fmac_f32_e32 v39, v80, v86
	v_dual_fmac_f32 v20, v75, v78 :: v_dual_fmac_f32 v51, v80, v84
	v_fmac_f32_e32 v33, v81, v85
	ds_load_b128 v[80:83], v54 offset:4096
	ds_load_b128 v[84:87], v53 offset:4096
	v_fmac_f32_e32 v39, v92, v90
	v_fmac_f32_e32 v36, v72, v79
	;; [unrolled: 1-line block ×12, first 2 shown]
	s_waitcnt lgkmcnt(0)
	v_dual_fmac_f32 v22, v87, v80 :: v_dual_fmac_f32 v45, v92, v89
	v_dual_fmac_f32 v20, v87, v82 :: v_dual_fmac_f32 v51, v92, v88
	ds_load_b128 v[88:91], v53 offset:4352
	ds_load_b128 v[92:95], v54 offset:4352
	v_fmac_f32_e32 v39, v84, v82
	v_fmac_f32_e32 v45, v72, v77
	;; [unrolled: 1-line block ×5, first 2 shown]
	s_delay_alu instid0(VALU_DEP_4)
	v_dual_fmac_f32 v28, v85, v82 :: v_dual_fmac_f32 v45, v84, v81
	v_dual_fmac_f32 v27, v85, v83 :: v_dual_fmac_f32 v26, v86, v80
	v_fmac_f32_e32 v25, v86, v81
	v_fmac_f32_e32 v24, v86, v82
	;; [unrolled: 1-line block ×5, first 2 shown]
	s_waitcnt lgkmcnt(0)
	v_dual_fmac_f32 v20, v91, v94 :: v_dual_fmac_f32 v51, v72, v76
	ds_load_b128 v[72:75], v54 offset:4608
	ds_load_b128 v[76:79], v53 offset:4608
	v_fmac_f32_e32 v45, v88, v93
	v_fmac_f32_e32 v39, v88, v94
	v_fmac_f32_e32 v36, v88, v95
	v_fmac_f32_e32 v51, v84, v80
	ds_load_b128 v[80:83], v53 offset:4864
	ds_load_b128 v[84:87], v54 offset:4864
	v_fmac_f32_e32 v34, v89, v92
	v_fmac_f32_e32 v33, v89, v93
	v_dual_fmac_f32 v28, v89, v94 :: v_dual_fmac_f32 v51, v88, v92
	v_dual_fmac_f32 v27, v89, v95 :: v_dual_fmac_f32 v26, v90, v92
	v_fmac_f32_e32 v25, v90, v93
	v_fmac_f32_e32 v24, v90, v94
	v_dual_fmac_f32 v23, v90, v95 :: v_dual_fmac_f32 v22, v91, v92
	v_fmac_f32_e32 v21, v91, v93
	v_fmac_f32_e32 v19, v91, v95
	ds_load_b128 v[88:91], v54 offset:5120
	ds_load_b128 v[92:95], v53 offset:5120
	s_waitcnt lgkmcnt(4)
	v_fmac_f32_e32 v51, v76, v72
	v_fmac_f32_e32 v45, v76, v73
	v_fmac_f32_e32 v39, v76, v74
	v_fmac_f32_e32 v36, v76, v75
	v_fmac_f32_e32 v34, v77, v72
	v_fmac_f32_e32 v33, v77, v73
	v_fmac_f32_e32 v28, v77, v74
	v_dual_fmac_f32 v27, v77, v75 :: v_dual_fmac_f32 v26, v78, v72
	v_fmac_f32_e32 v25, v78, v73
	v_fmac_f32_e32 v24, v78, v74
	v_dual_fmac_f32 v23, v78, v75 :: v_dual_fmac_f32 v22, v79, v72
	v_fmac_f32_e32 v21, v79, v73
	v_fmac_f32_e32 v20, v79, v74
	v_fmac_f32_e32 v19, v79, v75
	ds_load_b128 v[72:75], v53 offset:5376
	ds_load_b128 v[76:79], v54 offset:5376
	s_waitcnt lgkmcnt(4)
	v_fmac_f32_e32 v51, v80, v84
	v_fmac_f32_e32 v45, v80, v85
	v_fmac_f32_e32 v39, v80, v86
	v_fmac_f32_e32 v36, v80, v87
	v_fmac_f32_e32 v34, v81, v84
	v_fmac_f32_e32 v33, v81, v85
	v_fmac_f32_e32 v28, v81, v86
	v_dual_fmac_f32 v27, v81, v87 :: v_dual_fmac_f32 v26, v82, v84
	v_fmac_f32_e32 v25, v82, v85
	v_fmac_f32_e32 v24, v82, v86
	v_dual_fmac_f32 v23, v82, v87 :: v_dual_fmac_f32 v22, v83, v84
	v_fmac_f32_e32 v21, v83, v85
	;; [unrolled: 17-line block ×12, first 2 shown]
	v_fmac_f32_e32 v20, v91, v94
	v_fmac_f32_e32 v19, v91, v95
	s_waitcnt lgkmcnt(2)
	v_fmac_f32_e32 v51, v76, v72
	v_fmac_f32_e32 v45, v76, v73
	;; [unrolled: 1-line block ×7, first 2 shown]
	v_dual_fmac_f32 v27, v77, v75 :: v_dual_fmac_f32 v26, v78, v72
	v_fmac_f32_e32 v25, v78, v73
	v_fmac_f32_e32 v24, v78, v74
	v_dual_fmac_f32 v23, v78, v75 :: v_dual_fmac_f32 v22, v79, v72
	v_fmac_f32_e32 v21, v79, v73
	v_fmac_f32_e32 v20, v79, v74
	;; [unrolled: 1-line block ×3, first 2 shown]
	s_waitcnt lgkmcnt(0)
	v_fmac_f32_e32 v51, v80, v84
	v_fmac_f32_e32 v45, v80, v85
	;; [unrolled: 1-line block ×8, first 2 shown]
	v_dual_fmac_f32 v27, v81, v87 :: v_dual_fmac_f32 v26, v82, v84
	v_fmac_f32_e32 v25, v82, v85
	v_fmac_f32_e32 v24, v82, v86
	v_dual_fmac_f32 v23, v82, v87 :: v_dual_fmac_f32 v22, v83, v84
	v_fmac_f32_e32 v21, v83, v85
	v_fmac_f32_e32 v19, v83, v87
	s_barrier
	buffer_gl0_inv
	s_cbranch_scc1 .LBB36_228
.LBB36_3:                               ; =>This Inner Loop Header: Depth=1
	s_lshr_b32 s16, s19, 3
	v_and_or_b32 v72, 0x60, s18, v35
	s_mul_i32 s21, s16, 0xb0
	s_mul_hi_u32 s16, s16, 0xb0
	s_add_u32 s34, s28, s21
	s_addc_u32 s35, s17, s16
	s_bitcmp0_b32 s19, 0
	v_mov_b32_e32 v17, 0
	s_cselect_b32 s16, -1, 0
	s_and_b32 s29, s19, 7
	s_delay_alu instid0(SALU_CYCLE_1)
	s_lshl_b32 s21, 1, s29
	s_cmp_gt_u32 s29, 3
	s_cselect_b32 s33, -1, 0
	s_and_saveexec_b32 s36, s0
	s_cbranch_execz .LBB36_29
; %bb.4:                                ;   in Loop: Header=BB36_3 Depth=1
	v_add_co_u32 v17, vcc_lo, s34, v1
	v_add_co_ci_u32_e32 v18, vcc_lo, s35, v2, vcc_lo
	s_mov_b32 s37, exec_lo
	global_load_u16 v73, v[17:18], off
	s_waitcnt vmcnt(0)
	v_lshrrev_b16 v74, 8, v73
	s_delay_alu instid0(VALU_DEP_1) | instskip(NEXT) | instid1(VALU_DEP_1)
	v_and_b32_e32 v74, 0xffff, v74
	v_lshrrev_b32_e32 v75, 7, v74
	v_bfe_u32 v76, v74, 2, 5
	v_perm_b32 v74, v74, v73, 0x6050400
	s_delay_alu instid0(VALU_DEP_3) | instskip(NEXT) | instid1(VALU_DEP_3)
	v_lshlrev_b32_e32 v73, 31, v75
	v_cmpx_lt_i32_e32 30, v76
	s_xor_b32 s37, exec_lo, s37
; %bb.5:                                ;   in Loop: Header=BB36_3 Depth=1
	v_lshlrev_b32_e32 v73, 31, v75
	v_lshlrev_b32_e32 v74, 13, v74
                                        ; implicit-def: $vgpr76
                                        ; implicit-def: $vgpr75
	s_delay_alu instid0(VALU_DEP_1)
	v_or3_b32 v73, v74, v73, 0x7f800000
                                        ; implicit-def: $vgpr74
; %bb.6:                                ;   in Loop: Header=BB36_3 Depth=1
	s_and_not1_saveexec_b32 s37, s37
	s_cbranch_execz .LBB36_14
; %bb.7:                                ;   in Loop: Header=BB36_3 Depth=1
	v_and_b32_e32 v77, 0x3ff, v74
	s_mov_b32 s38, exec_lo
	v_cmpx_ne_u32_e32 0, v76
	s_xor_b32 s38, exec_lo, s38
; %bb.8:                                ;   in Loop: Header=BB36_3 Depth=1
	v_lshlrev_b32_e32 v73, 31, v75
	v_lshlrev_b32_e32 v74, 23, v76
	;; [unrolled: 1-line block ×3, first 2 shown]
                                        ; implicit-def: $vgpr77
	s_delay_alu instid0(VALU_DEP_1) | instskip(NEXT) | instid1(VALU_DEP_1)
	v_or3_b32 v73, v74, v73, v75
                                        ; implicit-def: $vgpr74
                                        ; implicit-def: $vgpr75
	v_add_nc_u32_e32 v73, 0x38000000, v73
; %bb.9:                                ;   in Loop: Header=BB36_3 Depth=1
	s_and_not1_saveexec_b32 s38, s38
	s_cbranch_execz .LBB36_13
; %bb.10:                               ;   in Loop: Header=BB36_3 Depth=1
	s_mov_b32 s39, exec_lo
	v_cmpx_ne_u32_e32 0, v77
	s_xor_b32 s39, exec_lo, s39
; %bb.11:                               ;   in Loop: Header=BB36_3 Depth=1
	v_clz_i32_u32_e32 v73, v77
	v_lshlrev_b32_e32 v75, 31, v75
	s_delay_alu instid0(VALU_DEP_2) | instskip(SKIP_1) | instid1(VALU_DEP_2)
	v_xor_b32_e32 v76, 31, v73
	v_lshlrev_b32_e32 v73, 23, v73
	v_sub_nc_u32_e32 v76, 9, v76
	s_delay_alu instid0(VALU_DEP_1) | instskip(NEXT) | instid1(VALU_DEP_1)
	v_lshlrev_b32_e32 v74, v76, v74
	v_lshlrev_b32_e32 v74, 14, v74
	s_delay_alu instid0(VALU_DEP_1) | instskip(NEXT) | instid1(VALU_DEP_1)
	v_and_or_b32 v74, 0x7fc000, v74, v75
	v_sub_nc_u32_e32 v73, v74, v73
	s_delay_alu instid0(VALU_DEP_1)
	v_add_nc_u32_e32 v73, 0x43000000, v73
; %bb.12:                               ;   in Loop: Header=BB36_3 Depth=1
	s_and_not1_saveexec_b32 s39, s39
	s_delay_alu instid0(SALU_CYCLE_1)
	s_or_b32 exec_lo, exec_lo, s39
.LBB36_13:                              ;   in Loop: Header=BB36_3 Depth=1
	s_delay_alu instid0(SALU_CYCLE_1)
	s_or_b32 exec_lo, exec_lo, s38
.LBB36_14:                              ;   in Loop: Header=BB36_3 Depth=1
	s_delay_alu instid0(SALU_CYCLE_1) | instskip(SKIP_4) | instid1(VALU_DEP_1)
	s_or_b32 exec_lo, exec_lo, s37
	global_load_u16 v74, v[17:18], off offset:2
	s_mov_b32 s37, exec_lo
	s_waitcnt vmcnt(0)
	v_lshrrev_b16 v75, 8, v74
	v_and_b32_e32 v75, 0xffff, v75
	s_delay_alu instid0(VALU_DEP_1) | instskip(SKIP_2) | instid1(VALU_DEP_3)
	v_lshrrev_b32_e32 v76, 7, v75
	v_bfe_u32 v77, v75, 2, 5
	v_perm_b32 v75, v75, v74, 0x6050400
	v_lshlrev_b32_e32 v74, 31, v76
	s_delay_alu instid0(VALU_DEP_3)
	v_cmpx_lt_i32_e32 30, v77
	s_xor_b32 s37, exec_lo, s37
; %bb.15:                               ;   in Loop: Header=BB36_3 Depth=1
	v_lshlrev_b32_e32 v74, 31, v76
	v_lshlrev_b32_e32 v75, 13, v75
                                        ; implicit-def: $vgpr77
                                        ; implicit-def: $vgpr76
	s_delay_alu instid0(VALU_DEP_1)
	v_or3_b32 v74, v75, v74, 0x7f800000
                                        ; implicit-def: $vgpr75
; %bb.16:                               ;   in Loop: Header=BB36_3 Depth=1
	s_and_not1_saveexec_b32 s37, s37
	s_cbranch_execz .LBB36_24
; %bb.17:                               ;   in Loop: Header=BB36_3 Depth=1
	v_and_b32_e32 v78, 0x3ff, v75
	s_mov_b32 s38, exec_lo
	v_cmpx_ne_u32_e32 0, v77
	s_xor_b32 s38, exec_lo, s38
; %bb.18:                               ;   in Loop: Header=BB36_3 Depth=1
	v_lshlrev_b32_e32 v74, 31, v76
	v_lshlrev_b32_e32 v75, 23, v77
	;; [unrolled: 1-line block ×3, first 2 shown]
                                        ; implicit-def: $vgpr78
	s_delay_alu instid0(VALU_DEP_1) | instskip(NEXT) | instid1(VALU_DEP_1)
	v_or3_b32 v74, v75, v74, v76
                                        ; implicit-def: $vgpr75
                                        ; implicit-def: $vgpr76
	v_add_nc_u32_e32 v74, 0x38000000, v74
; %bb.19:                               ;   in Loop: Header=BB36_3 Depth=1
	s_and_not1_saveexec_b32 s38, s38
	s_cbranch_execz .LBB36_23
; %bb.20:                               ;   in Loop: Header=BB36_3 Depth=1
	s_mov_b32 s39, exec_lo
	v_cmpx_ne_u32_e32 0, v78
	s_xor_b32 s39, exec_lo, s39
; %bb.21:                               ;   in Loop: Header=BB36_3 Depth=1
	v_clz_i32_u32_e32 v74, v78
	v_lshlrev_b32_e32 v76, 31, v76
	s_delay_alu instid0(VALU_DEP_2) | instskip(SKIP_1) | instid1(VALU_DEP_2)
	v_xor_b32_e32 v77, 31, v74
	v_lshlrev_b32_e32 v74, 23, v74
	v_sub_nc_u32_e32 v77, 9, v77
	s_delay_alu instid0(VALU_DEP_1) | instskip(NEXT) | instid1(VALU_DEP_1)
	v_lshlrev_b32_e32 v75, v77, v75
	v_lshlrev_b32_e32 v75, 14, v75
	s_delay_alu instid0(VALU_DEP_1) | instskip(NEXT) | instid1(VALU_DEP_1)
	v_and_or_b32 v75, 0x7fc000, v75, v76
	v_sub_nc_u32_e32 v74, v75, v74
	s_delay_alu instid0(VALU_DEP_1)
	v_add_nc_u32_e32 v74, 0x43000000, v74
; %bb.22:                               ;   in Loop: Header=BB36_3 Depth=1
	s_and_not1_saveexec_b32 s39, s39
	s_delay_alu instid0(SALU_CYCLE_1)
	s_or_b32 exec_lo, exec_lo, s39
.LBB36_23:                              ;   in Loop: Header=BB36_3 Depth=1
	s_delay_alu instid0(SALU_CYCLE_1)
	s_or_b32 exec_lo, exec_lo, s38
.LBB36_24:                              ;   in Loop: Header=BB36_3 Depth=1
	s_delay_alu instid0(SALU_CYCLE_1)
	s_or_b32 exec_lo, exec_lo, s37
	v_add_co_u32 v75, vcc_lo, v17, v72
	v_add_co_ci_u32_e32 v76, vcc_lo, 0, v18, vcc_lo
	v_add_co_u32 v77, vcc_lo, v17, v35
	v_add_co_ci_u32_e32 v78, vcc_lo, 0, v18, vcc_lo
	v_add_co_u32 v17, vcc_lo, v17, s29
	s_clause 0x1
	global_load_u8 v75, v[75:76], off offset:48
	global_load_u8 v76, v[77:78], off offset:16
	v_add_co_ci_u32_e32 v18, vcc_lo, 0, v18, vcc_lo
	s_and_b32 vcc_lo, exec_lo, s33
	s_cbranch_vccz .LBB36_26
; %bb.25:                               ;   in Loop: Header=BB36_3 Depth=1
	s_clause 0x2
	global_load_u8 v77, v[17:18], off
	global_load_u8 v78, v[17:18], off offset:4
	global_load_u8 v79, v[17:18], off offset:8
	s_waitcnt vmcnt(2)
	v_lshrrev_b16 v77, 2, v77
	s_waitcnt vmcnt(1)
	v_lshrrev_b16 v78, 2, v78
	s_waitcnt vmcnt(0)
	v_and_b32_e32 v80, 15, v79
	v_lshrrev_b16 v79, 4, v79
	v_and_b32_e32 v77, 48, v77
	v_and_b32_e32 v81, 48, v78
	s_delay_alu instid0(VALU_DEP_2) | instskip(NEXT) | instid1(VALU_DEP_2)
	v_or_b32_e32 v78, v77, v80
	v_or_b32_e32 v77, v81, v79
	s_cbranch_execz .LBB36_27
	s_branch .LBB36_28
.LBB36_26:                              ;   in Loop: Header=BB36_3 Depth=1
                                        ; implicit-def: $vgpr77
                                        ; implicit-def: $vgpr78
.LBB36_27:                              ;   in Loop: Header=BB36_3 Depth=1
	s_clause 0x1
	global_load_u8 v77, v[17:18], off offset:4
	global_load_u8 v17, v[17:18], off offset:8
	s_waitcnt vmcnt(1)
	v_and_b32_e32 v78, 63, v77
	s_waitcnt vmcnt(0)
	v_and_b32_e32 v77, 63, v17
.LBB36_28:                              ;   in Loop: Header=BB36_3 Depth=1
	s_waitcnt vmcnt(1)
	v_lshrrev_b32_e32 v17, 4, v75
	s_delay_alu instid0(VALU_DEP_1) | instskip(SKIP_3) | instid1(VALU_DEP_3)
	v_cndmask_b32_e64 v17, v17, v75, s16
	v_cvt_f32_ubyte0_e32 v75, v78
	s_waitcnt vmcnt(0)
	v_and_b32_e32 v18, s21, v76
	v_and_b32_e32 v17, 15, v17
	s_delay_alu instid0(VALU_DEP_3) | instskip(NEXT) | instid1(VALU_DEP_3)
	v_mul_f32_e32 v73, v73, v75
	v_cmp_ne_u32_e32 vcc_lo, 0, v18
	v_cndmask_b32_e64 v18, 0, 1, vcc_lo
	s_delay_alu instid0(VALU_DEP_1) | instskip(SKIP_1) | instid1(VALU_DEP_2)
	v_lshl_or_b32 v17, v18, 4, v17
	v_cvt_f32_ubyte0_e32 v18, v77
	v_cvt_f32_ubyte0_e32 v17, v17
	s_delay_alu instid0(VALU_DEP_2) | instskip(NEXT) | instid1(VALU_DEP_1)
	v_mul_f32_e32 v18, v74, v18
	v_fma_f32 v17, v73, v17, -v18
.LBB36_29:                              ;   in Loop: Header=BB36_3 Depth=1
	s_or_b32 exec_lo, exec_lo, s36
	v_mov_b32_e32 v18, 0
	ds_store_b32 v38, v17
	s_and_saveexec_b32 s36, s1
	s_cbranch_execz .LBB36_55
; %bb.30:                               ;   in Loop: Header=BB36_3 Depth=1
	v_add_co_u32 v17, vcc_lo, s34, v3
	v_add_co_ci_u32_e32 v18, vcc_lo, s35, v4, vcc_lo
	s_mov_b32 s37, exec_lo
	global_load_u16 v73, v[17:18], off
	s_waitcnt vmcnt(0)
	v_lshrrev_b16 v74, 8, v73
	s_delay_alu instid0(VALU_DEP_1) | instskip(NEXT) | instid1(VALU_DEP_1)
	v_and_b32_e32 v74, 0xffff, v74
	v_lshrrev_b32_e32 v75, 7, v74
	v_bfe_u32 v76, v74, 2, 5
	v_perm_b32 v74, v74, v73, 0x6050400
	s_delay_alu instid0(VALU_DEP_3) | instskip(NEXT) | instid1(VALU_DEP_3)
	v_lshlrev_b32_e32 v73, 31, v75
	v_cmpx_lt_i32_e32 30, v76
	s_xor_b32 s37, exec_lo, s37
; %bb.31:                               ;   in Loop: Header=BB36_3 Depth=1
	v_lshlrev_b32_e32 v73, 31, v75
	v_lshlrev_b32_e32 v74, 13, v74
                                        ; implicit-def: $vgpr76
                                        ; implicit-def: $vgpr75
	s_delay_alu instid0(VALU_DEP_1)
	v_or3_b32 v73, v74, v73, 0x7f800000
                                        ; implicit-def: $vgpr74
; %bb.32:                               ;   in Loop: Header=BB36_3 Depth=1
	s_and_not1_saveexec_b32 s37, s37
	s_cbranch_execz .LBB36_40
; %bb.33:                               ;   in Loop: Header=BB36_3 Depth=1
	v_and_b32_e32 v77, 0x3ff, v74
	s_mov_b32 s38, exec_lo
	v_cmpx_ne_u32_e32 0, v76
	s_xor_b32 s38, exec_lo, s38
; %bb.34:                               ;   in Loop: Header=BB36_3 Depth=1
	v_lshlrev_b32_e32 v73, 31, v75
	v_lshlrev_b32_e32 v74, 23, v76
	;; [unrolled: 1-line block ×3, first 2 shown]
                                        ; implicit-def: $vgpr77
	s_delay_alu instid0(VALU_DEP_1) | instskip(NEXT) | instid1(VALU_DEP_1)
	v_or3_b32 v73, v74, v73, v75
                                        ; implicit-def: $vgpr74
                                        ; implicit-def: $vgpr75
	v_add_nc_u32_e32 v73, 0x38000000, v73
; %bb.35:                               ;   in Loop: Header=BB36_3 Depth=1
	s_and_not1_saveexec_b32 s38, s38
	s_cbranch_execz .LBB36_39
; %bb.36:                               ;   in Loop: Header=BB36_3 Depth=1
	s_mov_b32 s39, exec_lo
	v_cmpx_ne_u32_e32 0, v77
	s_xor_b32 s39, exec_lo, s39
; %bb.37:                               ;   in Loop: Header=BB36_3 Depth=1
	v_clz_i32_u32_e32 v73, v77
	v_lshlrev_b32_e32 v75, 31, v75
	s_delay_alu instid0(VALU_DEP_2) | instskip(SKIP_1) | instid1(VALU_DEP_2)
	v_xor_b32_e32 v76, 31, v73
	v_lshlrev_b32_e32 v73, 23, v73
	v_sub_nc_u32_e32 v76, 9, v76
	s_delay_alu instid0(VALU_DEP_1) | instskip(NEXT) | instid1(VALU_DEP_1)
	v_lshlrev_b32_e32 v74, v76, v74
	v_lshlrev_b32_e32 v74, 14, v74
	s_delay_alu instid0(VALU_DEP_1) | instskip(NEXT) | instid1(VALU_DEP_1)
	v_and_or_b32 v74, 0x7fc000, v74, v75
	v_sub_nc_u32_e32 v73, v74, v73
	s_delay_alu instid0(VALU_DEP_1)
	v_add_nc_u32_e32 v73, 0x43000000, v73
; %bb.38:                               ;   in Loop: Header=BB36_3 Depth=1
	s_and_not1_saveexec_b32 s39, s39
	s_delay_alu instid0(SALU_CYCLE_1)
	s_or_b32 exec_lo, exec_lo, s39
.LBB36_39:                              ;   in Loop: Header=BB36_3 Depth=1
	s_delay_alu instid0(SALU_CYCLE_1)
	s_or_b32 exec_lo, exec_lo, s38
.LBB36_40:                              ;   in Loop: Header=BB36_3 Depth=1
	s_delay_alu instid0(SALU_CYCLE_1) | instskip(SKIP_4) | instid1(VALU_DEP_1)
	s_or_b32 exec_lo, exec_lo, s37
	global_load_u16 v74, v[17:18], off offset:2
	s_mov_b32 s37, exec_lo
	s_waitcnt vmcnt(0)
	v_lshrrev_b16 v75, 8, v74
	v_and_b32_e32 v75, 0xffff, v75
	s_delay_alu instid0(VALU_DEP_1) | instskip(SKIP_2) | instid1(VALU_DEP_3)
	v_lshrrev_b32_e32 v76, 7, v75
	v_bfe_u32 v77, v75, 2, 5
	v_perm_b32 v75, v75, v74, 0x6050400
	v_lshlrev_b32_e32 v74, 31, v76
	s_delay_alu instid0(VALU_DEP_3)
	v_cmpx_lt_i32_e32 30, v77
	s_xor_b32 s37, exec_lo, s37
; %bb.41:                               ;   in Loop: Header=BB36_3 Depth=1
	v_lshlrev_b32_e32 v74, 31, v76
	v_lshlrev_b32_e32 v75, 13, v75
                                        ; implicit-def: $vgpr77
                                        ; implicit-def: $vgpr76
	s_delay_alu instid0(VALU_DEP_1)
	v_or3_b32 v74, v75, v74, 0x7f800000
                                        ; implicit-def: $vgpr75
; %bb.42:                               ;   in Loop: Header=BB36_3 Depth=1
	s_and_not1_saveexec_b32 s37, s37
	s_cbranch_execz .LBB36_50
; %bb.43:                               ;   in Loop: Header=BB36_3 Depth=1
	v_and_b32_e32 v78, 0x3ff, v75
	s_mov_b32 s38, exec_lo
	v_cmpx_ne_u32_e32 0, v77
	s_xor_b32 s38, exec_lo, s38
; %bb.44:                               ;   in Loop: Header=BB36_3 Depth=1
	v_lshlrev_b32_e32 v74, 31, v76
	v_lshlrev_b32_e32 v75, 23, v77
	;; [unrolled: 1-line block ×3, first 2 shown]
                                        ; implicit-def: $vgpr78
	s_delay_alu instid0(VALU_DEP_1) | instskip(NEXT) | instid1(VALU_DEP_1)
	v_or3_b32 v74, v75, v74, v76
                                        ; implicit-def: $vgpr75
                                        ; implicit-def: $vgpr76
	v_add_nc_u32_e32 v74, 0x38000000, v74
; %bb.45:                               ;   in Loop: Header=BB36_3 Depth=1
	s_and_not1_saveexec_b32 s38, s38
	s_cbranch_execz .LBB36_49
; %bb.46:                               ;   in Loop: Header=BB36_3 Depth=1
	s_mov_b32 s39, exec_lo
	v_cmpx_ne_u32_e32 0, v78
	s_xor_b32 s39, exec_lo, s39
; %bb.47:                               ;   in Loop: Header=BB36_3 Depth=1
	v_clz_i32_u32_e32 v74, v78
	v_lshlrev_b32_e32 v76, 31, v76
	s_delay_alu instid0(VALU_DEP_2) | instskip(SKIP_1) | instid1(VALU_DEP_2)
	v_xor_b32_e32 v77, 31, v74
	v_lshlrev_b32_e32 v74, 23, v74
	v_sub_nc_u32_e32 v77, 9, v77
	s_delay_alu instid0(VALU_DEP_1) | instskip(NEXT) | instid1(VALU_DEP_1)
	v_lshlrev_b32_e32 v75, v77, v75
	v_lshlrev_b32_e32 v75, 14, v75
	s_delay_alu instid0(VALU_DEP_1) | instskip(NEXT) | instid1(VALU_DEP_1)
	v_and_or_b32 v75, 0x7fc000, v75, v76
	v_sub_nc_u32_e32 v74, v75, v74
	s_delay_alu instid0(VALU_DEP_1)
	v_add_nc_u32_e32 v74, 0x43000000, v74
; %bb.48:                               ;   in Loop: Header=BB36_3 Depth=1
	s_and_not1_saveexec_b32 s39, s39
	s_delay_alu instid0(SALU_CYCLE_1)
	s_or_b32 exec_lo, exec_lo, s39
.LBB36_49:                              ;   in Loop: Header=BB36_3 Depth=1
	s_delay_alu instid0(SALU_CYCLE_1)
	s_or_b32 exec_lo, exec_lo, s38
.LBB36_50:                              ;   in Loop: Header=BB36_3 Depth=1
	s_delay_alu instid0(SALU_CYCLE_1)
	s_or_b32 exec_lo, exec_lo, s37
	v_add_co_u32 v75, vcc_lo, v17, v72
	v_add_co_ci_u32_e32 v76, vcc_lo, 0, v18, vcc_lo
	v_add_co_u32 v77, vcc_lo, v17, v35
	v_add_co_ci_u32_e32 v78, vcc_lo, 0, v18, vcc_lo
	v_add_co_u32 v17, vcc_lo, v17, s29
	s_clause 0x1
	global_load_u8 v75, v[75:76], off offset:48
	global_load_u8 v76, v[77:78], off offset:16
	v_add_co_ci_u32_e32 v18, vcc_lo, 0, v18, vcc_lo
	s_and_not1_b32 vcc_lo, exec_lo, s33
	s_cbranch_vccnz .LBB36_52
; %bb.51:                               ;   in Loop: Header=BB36_3 Depth=1
	s_clause 0x2
	global_load_u8 v77, v[17:18], off
	global_load_u8 v78, v[17:18], off offset:4
	global_load_u8 v79, v[17:18], off offset:8
	s_waitcnt vmcnt(2)
	v_lshrrev_b16 v77, 2, v77
	s_waitcnt vmcnt(1)
	v_lshrrev_b16 v78, 2, v78
	s_waitcnt vmcnt(0)
	v_and_b32_e32 v80, 15, v79
	v_lshrrev_b16 v79, 4, v79
	v_and_b32_e32 v77, 48, v77
	v_and_b32_e32 v81, 48, v78
	s_delay_alu instid0(VALU_DEP_2) | instskip(NEXT) | instid1(VALU_DEP_2)
	v_or_b32_e32 v78, v77, v80
	v_or_b32_e32 v77, v81, v79
	s_cbranch_execz .LBB36_53
	s_branch .LBB36_54
.LBB36_52:                              ;   in Loop: Header=BB36_3 Depth=1
                                        ; implicit-def: $vgpr77
                                        ; implicit-def: $vgpr78
.LBB36_53:                              ;   in Loop: Header=BB36_3 Depth=1
	s_clause 0x1
	global_load_u8 v77, v[17:18], off offset:4
	global_load_u8 v17, v[17:18], off offset:8
	s_waitcnt vmcnt(1)
	v_and_b32_e32 v78, 63, v77
	s_waitcnt vmcnt(0)
	v_and_b32_e32 v77, 63, v17
.LBB36_54:                              ;   in Loop: Header=BB36_3 Depth=1
	s_waitcnt vmcnt(1)
	v_lshrrev_b32_e32 v17, 4, v75
	s_delay_alu instid0(VALU_DEP_1) | instskip(SKIP_3) | instid1(VALU_DEP_3)
	v_cndmask_b32_e64 v17, v17, v75, s16
	v_cvt_f32_ubyte0_e32 v75, v78
	s_waitcnt vmcnt(0)
	v_and_b32_e32 v18, s21, v76
	v_and_b32_e32 v17, 15, v17
	s_delay_alu instid0(VALU_DEP_3) | instskip(NEXT) | instid1(VALU_DEP_3)
	v_mul_f32_e32 v73, v73, v75
	v_cmp_ne_u32_e32 vcc_lo, 0, v18
	v_cndmask_b32_e64 v18, 0, 1, vcc_lo
	s_delay_alu instid0(VALU_DEP_1) | instskip(SKIP_1) | instid1(VALU_DEP_2)
	v_lshl_or_b32 v17, v18, 4, v17
	v_cvt_f32_ubyte0_e32 v18, v77
	v_cvt_f32_ubyte0_e32 v17, v17
	s_delay_alu instid0(VALU_DEP_2) | instskip(NEXT) | instid1(VALU_DEP_1)
	v_mul_f32_e32 v18, v74, v18
	v_fma_f32 v18, v73, v17, -v18
.LBB36_55:                              ;   in Loop: Header=BB36_3 Depth=1
	s_or_b32 exec_lo, exec_lo, s36
	v_mov_b32_e32 v17, 0
	ds_store_b32 v41, v18
	s_and_saveexec_b32 s36, s2
	s_cbranch_execz .LBB36_81
; %bb.56:                               ;   in Loop: Header=BB36_3 Depth=1
	v_add_co_u32 v17, vcc_lo, s34, v5
	v_add_co_ci_u32_e32 v18, vcc_lo, s35, v6, vcc_lo
	s_mov_b32 s37, exec_lo
	global_load_u16 v73, v[17:18], off
	s_waitcnt vmcnt(0)
	v_lshrrev_b16 v74, 8, v73
	s_delay_alu instid0(VALU_DEP_1) | instskip(NEXT) | instid1(VALU_DEP_1)
	v_and_b32_e32 v74, 0xffff, v74
	v_lshrrev_b32_e32 v75, 7, v74
	v_bfe_u32 v76, v74, 2, 5
	v_perm_b32 v74, v74, v73, 0x6050400
	s_delay_alu instid0(VALU_DEP_3) | instskip(NEXT) | instid1(VALU_DEP_3)
	v_lshlrev_b32_e32 v73, 31, v75
	v_cmpx_lt_i32_e32 30, v76
	s_xor_b32 s37, exec_lo, s37
; %bb.57:                               ;   in Loop: Header=BB36_3 Depth=1
	v_lshlrev_b32_e32 v73, 31, v75
	v_lshlrev_b32_e32 v74, 13, v74
                                        ; implicit-def: $vgpr76
                                        ; implicit-def: $vgpr75
	s_delay_alu instid0(VALU_DEP_1)
	v_or3_b32 v73, v74, v73, 0x7f800000
                                        ; implicit-def: $vgpr74
; %bb.58:                               ;   in Loop: Header=BB36_3 Depth=1
	s_and_not1_saveexec_b32 s37, s37
	s_cbranch_execz .LBB36_66
; %bb.59:                               ;   in Loop: Header=BB36_3 Depth=1
	v_and_b32_e32 v77, 0x3ff, v74
	s_mov_b32 s38, exec_lo
	v_cmpx_ne_u32_e32 0, v76
	s_xor_b32 s38, exec_lo, s38
; %bb.60:                               ;   in Loop: Header=BB36_3 Depth=1
	v_lshlrev_b32_e32 v73, 31, v75
	v_lshlrev_b32_e32 v74, 23, v76
	;; [unrolled: 1-line block ×3, first 2 shown]
                                        ; implicit-def: $vgpr77
	s_delay_alu instid0(VALU_DEP_1) | instskip(NEXT) | instid1(VALU_DEP_1)
	v_or3_b32 v73, v74, v73, v75
                                        ; implicit-def: $vgpr74
                                        ; implicit-def: $vgpr75
	v_add_nc_u32_e32 v73, 0x38000000, v73
; %bb.61:                               ;   in Loop: Header=BB36_3 Depth=1
	s_and_not1_saveexec_b32 s38, s38
	s_cbranch_execz .LBB36_65
; %bb.62:                               ;   in Loop: Header=BB36_3 Depth=1
	s_mov_b32 s39, exec_lo
	v_cmpx_ne_u32_e32 0, v77
	s_xor_b32 s39, exec_lo, s39
; %bb.63:                               ;   in Loop: Header=BB36_3 Depth=1
	v_clz_i32_u32_e32 v73, v77
	v_lshlrev_b32_e32 v75, 31, v75
	s_delay_alu instid0(VALU_DEP_2) | instskip(SKIP_1) | instid1(VALU_DEP_2)
	v_xor_b32_e32 v76, 31, v73
	v_lshlrev_b32_e32 v73, 23, v73
	v_sub_nc_u32_e32 v76, 9, v76
	s_delay_alu instid0(VALU_DEP_1) | instskip(NEXT) | instid1(VALU_DEP_1)
	v_lshlrev_b32_e32 v74, v76, v74
	v_lshlrev_b32_e32 v74, 14, v74
	s_delay_alu instid0(VALU_DEP_1) | instskip(NEXT) | instid1(VALU_DEP_1)
	v_and_or_b32 v74, 0x7fc000, v74, v75
	v_sub_nc_u32_e32 v73, v74, v73
	s_delay_alu instid0(VALU_DEP_1)
	v_add_nc_u32_e32 v73, 0x43000000, v73
; %bb.64:                               ;   in Loop: Header=BB36_3 Depth=1
	s_and_not1_saveexec_b32 s39, s39
	s_delay_alu instid0(SALU_CYCLE_1)
	s_or_b32 exec_lo, exec_lo, s39
.LBB36_65:                              ;   in Loop: Header=BB36_3 Depth=1
	s_delay_alu instid0(SALU_CYCLE_1)
	s_or_b32 exec_lo, exec_lo, s38
.LBB36_66:                              ;   in Loop: Header=BB36_3 Depth=1
	s_delay_alu instid0(SALU_CYCLE_1) | instskip(SKIP_4) | instid1(VALU_DEP_1)
	s_or_b32 exec_lo, exec_lo, s37
	global_load_u16 v74, v[17:18], off offset:2
	s_mov_b32 s37, exec_lo
	s_waitcnt vmcnt(0)
	v_lshrrev_b16 v75, 8, v74
	v_and_b32_e32 v75, 0xffff, v75
	s_delay_alu instid0(VALU_DEP_1) | instskip(SKIP_2) | instid1(VALU_DEP_3)
	v_lshrrev_b32_e32 v76, 7, v75
	v_bfe_u32 v77, v75, 2, 5
	v_perm_b32 v75, v75, v74, 0x6050400
	v_lshlrev_b32_e32 v74, 31, v76
	s_delay_alu instid0(VALU_DEP_3)
	v_cmpx_lt_i32_e32 30, v77
	s_xor_b32 s37, exec_lo, s37
; %bb.67:                               ;   in Loop: Header=BB36_3 Depth=1
	v_lshlrev_b32_e32 v74, 31, v76
	v_lshlrev_b32_e32 v75, 13, v75
                                        ; implicit-def: $vgpr77
                                        ; implicit-def: $vgpr76
	s_delay_alu instid0(VALU_DEP_1)
	v_or3_b32 v74, v75, v74, 0x7f800000
                                        ; implicit-def: $vgpr75
; %bb.68:                               ;   in Loop: Header=BB36_3 Depth=1
	s_and_not1_saveexec_b32 s37, s37
	s_cbranch_execz .LBB36_76
; %bb.69:                               ;   in Loop: Header=BB36_3 Depth=1
	v_and_b32_e32 v78, 0x3ff, v75
	s_mov_b32 s38, exec_lo
	v_cmpx_ne_u32_e32 0, v77
	s_xor_b32 s38, exec_lo, s38
; %bb.70:                               ;   in Loop: Header=BB36_3 Depth=1
	v_lshlrev_b32_e32 v74, 31, v76
	v_lshlrev_b32_e32 v75, 23, v77
	;; [unrolled: 1-line block ×3, first 2 shown]
                                        ; implicit-def: $vgpr78
	s_delay_alu instid0(VALU_DEP_1) | instskip(NEXT) | instid1(VALU_DEP_1)
	v_or3_b32 v74, v75, v74, v76
                                        ; implicit-def: $vgpr75
                                        ; implicit-def: $vgpr76
	v_add_nc_u32_e32 v74, 0x38000000, v74
; %bb.71:                               ;   in Loop: Header=BB36_3 Depth=1
	s_and_not1_saveexec_b32 s38, s38
	s_cbranch_execz .LBB36_75
; %bb.72:                               ;   in Loop: Header=BB36_3 Depth=1
	s_mov_b32 s39, exec_lo
	v_cmpx_ne_u32_e32 0, v78
	s_xor_b32 s39, exec_lo, s39
; %bb.73:                               ;   in Loop: Header=BB36_3 Depth=1
	v_clz_i32_u32_e32 v74, v78
	v_lshlrev_b32_e32 v76, 31, v76
	s_delay_alu instid0(VALU_DEP_2) | instskip(SKIP_1) | instid1(VALU_DEP_2)
	v_xor_b32_e32 v77, 31, v74
	v_lshlrev_b32_e32 v74, 23, v74
	v_sub_nc_u32_e32 v77, 9, v77
	s_delay_alu instid0(VALU_DEP_1) | instskip(NEXT) | instid1(VALU_DEP_1)
	v_lshlrev_b32_e32 v75, v77, v75
	v_lshlrev_b32_e32 v75, 14, v75
	s_delay_alu instid0(VALU_DEP_1) | instskip(NEXT) | instid1(VALU_DEP_1)
	v_and_or_b32 v75, 0x7fc000, v75, v76
	v_sub_nc_u32_e32 v74, v75, v74
	s_delay_alu instid0(VALU_DEP_1)
	v_add_nc_u32_e32 v74, 0x43000000, v74
; %bb.74:                               ;   in Loop: Header=BB36_3 Depth=1
	s_and_not1_saveexec_b32 s39, s39
	s_delay_alu instid0(SALU_CYCLE_1)
	s_or_b32 exec_lo, exec_lo, s39
.LBB36_75:                              ;   in Loop: Header=BB36_3 Depth=1
	s_delay_alu instid0(SALU_CYCLE_1)
	s_or_b32 exec_lo, exec_lo, s38
.LBB36_76:                              ;   in Loop: Header=BB36_3 Depth=1
	s_delay_alu instid0(SALU_CYCLE_1)
	s_or_b32 exec_lo, exec_lo, s37
	v_add_co_u32 v75, vcc_lo, v17, v72
	v_add_co_ci_u32_e32 v76, vcc_lo, 0, v18, vcc_lo
	v_add_co_u32 v77, vcc_lo, v17, v35
	v_add_co_ci_u32_e32 v78, vcc_lo, 0, v18, vcc_lo
	v_add_co_u32 v17, vcc_lo, v17, s29
	s_clause 0x1
	global_load_u8 v75, v[75:76], off offset:48
	global_load_u8 v76, v[77:78], off offset:16
	v_add_co_ci_u32_e32 v18, vcc_lo, 0, v18, vcc_lo
	s_and_not1_b32 vcc_lo, exec_lo, s33
	s_cbranch_vccnz .LBB36_78
; %bb.77:                               ;   in Loop: Header=BB36_3 Depth=1
	s_clause 0x2
	global_load_u8 v77, v[17:18], off
	global_load_u8 v78, v[17:18], off offset:4
	global_load_u8 v79, v[17:18], off offset:8
	s_waitcnt vmcnt(2)
	v_lshrrev_b16 v77, 2, v77
	s_waitcnt vmcnt(1)
	v_lshrrev_b16 v78, 2, v78
	s_waitcnt vmcnt(0)
	v_and_b32_e32 v80, 15, v79
	v_lshrrev_b16 v79, 4, v79
	v_and_b32_e32 v77, 48, v77
	v_and_b32_e32 v81, 48, v78
	s_delay_alu instid0(VALU_DEP_2) | instskip(NEXT) | instid1(VALU_DEP_2)
	v_or_b32_e32 v78, v77, v80
	v_or_b32_e32 v77, v81, v79
	s_cbranch_execz .LBB36_79
	s_branch .LBB36_80
.LBB36_78:                              ;   in Loop: Header=BB36_3 Depth=1
                                        ; implicit-def: $vgpr77
                                        ; implicit-def: $vgpr78
.LBB36_79:                              ;   in Loop: Header=BB36_3 Depth=1
	s_clause 0x1
	global_load_u8 v77, v[17:18], off offset:4
	global_load_u8 v17, v[17:18], off offset:8
	s_waitcnt vmcnt(1)
	v_and_b32_e32 v78, 63, v77
	s_waitcnt vmcnt(0)
	v_and_b32_e32 v77, 63, v17
.LBB36_80:                              ;   in Loop: Header=BB36_3 Depth=1
	s_waitcnt vmcnt(1)
	v_lshrrev_b32_e32 v17, 4, v75
	s_delay_alu instid0(VALU_DEP_1) | instskip(SKIP_3) | instid1(VALU_DEP_3)
	v_cndmask_b32_e64 v17, v17, v75, s16
	v_cvt_f32_ubyte0_e32 v75, v78
	s_waitcnt vmcnt(0)
	v_and_b32_e32 v18, s21, v76
	v_and_b32_e32 v17, 15, v17
	s_delay_alu instid0(VALU_DEP_3) | instskip(NEXT) | instid1(VALU_DEP_3)
	v_mul_f32_e32 v73, v73, v75
	v_cmp_ne_u32_e32 vcc_lo, 0, v18
	v_cndmask_b32_e64 v18, 0, 1, vcc_lo
	s_delay_alu instid0(VALU_DEP_1) | instskip(SKIP_1) | instid1(VALU_DEP_2)
	v_lshl_or_b32 v17, v18, 4, v17
	v_cvt_f32_ubyte0_e32 v18, v77
	v_cvt_f32_ubyte0_e32 v17, v17
	s_delay_alu instid0(VALU_DEP_2) | instskip(NEXT) | instid1(VALU_DEP_1)
	v_mul_f32_e32 v18, v74, v18
	v_fma_f32 v17, v73, v17, -v18
.LBB36_81:                              ;   in Loop: Header=BB36_3 Depth=1
	s_or_b32 exec_lo, exec_lo, s36
	v_mov_b32_e32 v18, 0
	ds_store_b32 v43, v17
	s_and_saveexec_b32 s36, s3
	s_cbranch_execz .LBB36_107
; %bb.82:                               ;   in Loop: Header=BB36_3 Depth=1
	v_add_co_u32 v17, vcc_lo, s34, v7
	v_add_co_ci_u32_e32 v18, vcc_lo, s35, v8, vcc_lo
	s_mov_b32 s37, exec_lo
	global_load_u16 v73, v[17:18], off
	s_waitcnt vmcnt(0)
	v_lshrrev_b16 v74, 8, v73
	s_delay_alu instid0(VALU_DEP_1) | instskip(NEXT) | instid1(VALU_DEP_1)
	v_and_b32_e32 v74, 0xffff, v74
	v_lshrrev_b32_e32 v75, 7, v74
	v_bfe_u32 v76, v74, 2, 5
	v_perm_b32 v74, v74, v73, 0x6050400
	s_delay_alu instid0(VALU_DEP_3) | instskip(NEXT) | instid1(VALU_DEP_3)
	v_lshlrev_b32_e32 v73, 31, v75
	v_cmpx_lt_i32_e32 30, v76
	s_xor_b32 s37, exec_lo, s37
; %bb.83:                               ;   in Loop: Header=BB36_3 Depth=1
	v_lshlrev_b32_e32 v73, 31, v75
	v_lshlrev_b32_e32 v74, 13, v74
                                        ; implicit-def: $vgpr76
                                        ; implicit-def: $vgpr75
	s_delay_alu instid0(VALU_DEP_1)
	v_or3_b32 v73, v74, v73, 0x7f800000
                                        ; implicit-def: $vgpr74
; %bb.84:                               ;   in Loop: Header=BB36_3 Depth=1
	s_and_not1_saveexec_b32 s37, s37
	s_cbranch_execz .LBB36_92
; %bb.85:                               ;   in Loop: Header=BB36_3 Depth=1
	v_and_b32_e32 v77, 0x3ff, v74
	s_mov_b32 s38, exec_lo
	v_cmpx_ne_u32_e32 0, v76
	s_xor_b32 s38, exec_lo, s38
; %bb.86:                               ;   in Loop: Header=BB36_3 Depth=1
	v_lshlrev_b32_e32 v73, 31, v75
	v_lshlrev_b32_e32 v74, 23, v76
	;; [unrolled: 1-line block ×3, first 2 shown]
                                        ; implicit-def: $vgpr77
	s_delay_alu instid0(VALU_DEP_1) | instskip(NEXT) | instid1(VALU_DEP_1)
	v_or3_b32 v73, v74, v73, v75
                                        ; implicit-def: $vgpr74
                                        ; implicit-def: $vgpr75
	v_add_nc_u32_e32 v73, 0x38000000, v73
; %bb.87:                               ;   in Loop: Header=BB36_3 Depth=1
	s_and_not1_saveexec_b32 s38, s38
	s_cbranch_execz .LBB36_91
; %bb.88:                               ;   in Loop: Header=BB36_3 Depth=1
	s_mov_b32 s39, exec_lo
	v_cmpx_ne_u32_e32 0, v77
	s_xor_b32 s39, exec_lo, s39
; %bb.89:                               ;   in Loop: Header=BB36_3 Depth=1
	v_clz_i32_u32_e32 v73, v77
	v_lshlrev_b32_e32 v75, 31, v75
	s_delay_alu instid0(VALU_DEP_2) | instskip(SKIP_1) | instid1(VALU_DEP_2)
	v_xor_b32_e32 v76, 31, v73
	v_lshlrev_b32_e32 v73, 23, v73
	v_sub_nc_u32_e32 v76, 9, v76
	s_delay_alu instid0(VALU_DEP_1) | instskip(NEXT) | instid1(VALU_DEP_1)
	v_lshlrev_b32_e32 v74, v76, v74
	v_lshlrev_b32_e32 v74, 14, v74
	s_delay_alu instid0(VALU_DEP_1) | instskip(NEXT) | instid1(VALU_DEP_1)
	v_and_or_b32 v74, 0x7fc000, v74, v75
	v_sub_nc_u32_e32 v73, v74, v73
	s_delay_alu instid0(VALU_DEP_1)
	v_add_nc_u32_e32 v73, 0x43000000, v73
; %bb.90:                               ;   in Loop: Header=BB36_3 Depth=1
	s_and_not1_saveexec_b32 s39, s39
	s_delay_alu instid0(SALU_CYCLE_1)
	s_or_b32 exec_lo, exec_lo, s39
.LBB36_91:                              ;   in Loop: Header=BB36_3 Depth=1
	s_delay_alu instid0(SALU_CYCLE_1)
	s_or_b32 exec_lo, exec_lo, s38
.LBB36_92:                              ;   in Loop: Header=BB36_3 Depth=1
	s_delay_alu instid0(SALU_CYCLE_1) | instskip(SKIP_4) | instid1(VALU_DEP_1)
	s_or_b32 exec_lo, exec_lo, s37
	global_load_u16 v74, v[17:18], off offset:2
	s_mov_b32 s37, exec_lo
	s_waitcnt vmcnt(0)
	v_lshrrev_b16 v75, 8, v74
	v_and_b32_e32 v75, 0xffff, v75
	s_delay_alu instid0(VALU_DEP_1) | instskip(SKIP_2) | instid1(VALU_DEP_3)
	v_lshrrev_b32_e32 v76, 7, v75
	v_bfe_u32 v77, v75, 2, 5
	v_perm_b32 v75, v75, v74, 0x6050400
	v_lshlrev_b32_e32 v74, 31, v76
	s_delay_alu instid0(VALU_DEP_3)
	v_cmpx_lt_i32_e32 30, v77
	s_xor_b32 s37, exec_lo, s37
; %bb.93:                               ;   in Loop: Header=BB36_3 Depth=1
	v_lshlrev_b32_e32 v74, 31, v76
	v_lshlrev_b32_e32 v75, 13, v75
                                        ; implicit-def: $vgpr77
                                        ; implicit-def: $vgpr76
	s_delay_alu instid0(VALU_DEP_1)
	v_or3_b32 v74, v75, v74, 0x7f800000
                                        ; implicit-def: $vgpr75
; %bb.94:                               ;   in Loop: Header=BB36_3 Depth=1
	s_and_not1_saveexec_b32 s37, s37
	s_cbranch_execz .LBB36_102
; %bb.95:                               ;   in Loop: Header=BB36_3 Depth=1
	v_and_b32_e32 v78, 0x3ff, v75
	s_mov_b32 s38, exec_lo
	v_cmpx_ne_u32_e32 0, v77
	s_xor_b32 s38, exec_lo, s38
; %bb.96:                               ;   in Loop: Header=BB36_3 Depth=1
	v_lshlrev_b32_e32 v74, 31, v76
	v_lshlrev_b32_e32 v75, 23, v77
	;; [unrolled: 1-line block ×3, first 2 shown]
                                        ; implicit-def: $vgpr78
	s_delay_alu instid0(VALU_DEP_1) | instskip(NEXT) | instid1(VALU_DEP_1)
	v_or3_b32 v74, v75, v74, v76
                                        ; implicit-def: $vgpr75
                                        ; implicit-def: $vgpr76
	v_add_nc_u32_e32 v74, 0x38000000, v74
; %bb.97:                               ;   in Loop: Header=BB36_3 Depth=1
	s_and_not1_saveexec_b32 s38, s38
	s_cbranch_execz .LBB36_101
; %bb.98:                               ;   in Loop: Header=BB36_3 Depth=1
	s_mov_b32 s39, exec_lo
	v_cmpx_ne_u32_e32 0, v78
	s_xor_b32 s39, exec_lo, s39
; %bb.99:                               ;   in Loop: Header=BB36_3 Depth=1
	v_clz_i32_u32_e32 v74, v78
	v_lshlrev_b32_e32 v76, 31, v76
	s_delay_alu instid0(VALU_DEP_2) | instskip(SKIP_1) | instid1(VALU_DEP_2)
	v_xor_b32_e32 v77, 31, v74
	v_lshlrev_b32_e32 v74, 23, v74
	v_sub_nc_u32_e32 v77, 9, v77
	s_delay_alu instid0(VALU_DEP_1) | instskip(NEXT) | instid1(VALU_DEP_1)
	v_lshlrev_b32_e32 v75, v77, v75
	v_lshlrev_b32_e32 v75, 14, v75
	s_delay_alu instid0(VALU_DEP_1) | instskip(NEXT) | instid1(VALU_DEP_1)
	v_and_or_b32 v75, 0x7fc000, v75, v76
	v_sub_nc_u32_e32 v74, v75, v74
	s_delay_alu instid0(VALU_DEP_1)
	v_add_nc_u32_e32 v74, 0x43000000, v74
; %bb.100:                              ;   in Loop: Header=BB36_3 Depth=1
	s_and_not1_saveexec_b32 s39, s39
	s_delay_alu instid0(SALU_CYCLE_1)
	s_or_b32 exec_lo, exec_lo, s39
.LBB36_101:                             ;   in Loop: Header=BB36_3 Depth=1
	s_delay_alu instid0(SALU_CYCLE_1)
	s_or_b32 exec_lo, exec_lo, s38
.LBB36_102:                             ;   in Loop: Header=BB36_3 Depth=1
	s_delay_alu instid0(SALU_CYCLE_1)
	s_or_b32 exec_lo, exec_lo, s37
	v_add_co_u32 v75, vcc_lo, v17, v72
	v_add_co_ci_u32_e32 v76, vcc_lo, 0, v18, vcc_lo
	v_add_co_u32 v77, vcc_lo, v17, v35
	v_add_co_ci_u32_e32 v78, vcc_lo, 0, v18, vcc_lo
	v_add_co_u32 v17, vcc_lo, v17, s29
	s_clause 0x1
	global_load_u8 v75, v[75:76], off offset:48
	global_load_u8 v76, v[77:78], off offset:16
	v_add_co_ci_u32_e32 v18, vcc_lo, 0, v18, vcc_lo
	s_and_not1_b32 vcc_lo, exec_lo, s33
	s_cbranch_vccnz .LBB36_104
; %bb.103:                              ;   in Loop: Header=BB36_3 Depth=1
	s_clause 0x2
	global_load_u8 v77, v[17:18], off
	global_load_u8 v78, v[17:18], off offset:4
	global_load_u8 v79, v[17:18], off offset:8
	s_waitcnt vmcnt(2)
	v_lshrrev_b16 v77, 2, v77
	s_waitcnt vmcnt(1)
	v_lshrrev_b16 v78, 2, v78
	s_waitcnt vmcnt(0)
	v_and_b32_e32 v80, 15, v79
	v_lshrrev_b16 v79, 4, v79
	v_and_b32_e32 v77, 48, v77
	v_and_b32_e32 v81, 48, v78
	s_delay_alu instid0(VALU_DEP_2) | instskip(NEXT) | instid1(VALU_DEP_2)
	v_or_b32_e32 v78, v77, v80
	v_or_b32_e32 v77, v81, v79
	s_cbranch_execz .LBB36_105
	s_branch .LBB36_106
.LBB36_104:                             ;   in Loop: Header=BB36_3 Depth=1
                                        ; implicit-def: $vgpr77
                                        ; implicit-def: $vgpr78
.LBB36_105:                             ;   in Loop: Header=BB36_3 Depth=1
	s_clause 0x1
	global_load_u8 v77, v[17:18], off offset:4
	global_load_u8 v17, v[17:18], off offset:8
	s_waitcnt vmcnt(1)
	v_and_b32_e32 v78, 63, v77
	s_waitcnt vmcnt(0)
	v_and_b32_e32 v77, 63, v17
.LBB36_106:                             ;   in Loop: Header=BB36_3 Depth=1
	s_waitcnt vmcnt(1)
	v_lshrrev_b32_e32 v17, 4, v75
	s_delay_alu instid0(VALU_DEP_1) | instskip(SKIP_3) | instid1(VALU_DEP_3)
	v_cndmask_b32_e64 v17, v17, v75, s16
	v_cvt_f32_ubyte0_e32 v75, v78
	s_waitcnt vmcnt(0)
	v_and_b32_e32 v18, s21, v76
	v_and_b32_e32 v17, 15, v17
	s_delay_alu instid0(VALU_DEP_3) | instskip(NEXT) | instid1(VALU_DEP_3)
	v_mul_f32_e32 v73, v73, v75
	v_cmp_ne_u32_e32 vcc_lo, 0, v18
	v_cndmask_b32_e64 v18, 0, 1, vcc_lo
	s_delay_alu instid0(VALU_DEP_1) | instskip(SKIP_1) | instid1(VALU_DEP_2)
	v_lshl_or_b32 v17, v18, 4, v17
	v_cvt_f32_ubyte0_e32 v18, v77
	v_cvt_f32_ubyte0_e32 v17, v17
	s_delay_alu instid0(VALU_DEP_2) | instskip(NEXT) | instid1(VALU_DEP_1)
	v_mul_f32_e32 v18, v74, v18
	v_fma_f32 v18, v73, v17, -v18
.LBB36_107:                             ;   in Loop: Header=BB36_3 Depth=1
	s_or_b32 exec_lo, exec_lo, s36
	v_mov_b32_e32 v17, 0
	ds_store_b32 v46, v18
	s_and_saveexec_b32 s36, s4
	s_cbranch_execz .LBB36_133
; %bb.108:                              ;   in Loop: Header=BB36_3 Depth=1
	v_add_co_u32 v17, vcc_lo, s34, v9
	v_add_co_ci_u32_e32 v18, vcc_lo, s35, v10, vcc_lo
	s_mov_b32 s37, exec_lo
	global_load_u16 v73, v[17:18], off
	s_waitcnt vmcnt(0)
	v_lshrrev_b16 v74, 8, v73
	s_delay_alu instid0(VALU_DEP_1) | instskip(NEXT) | instid1(VALU_DEP_1)
	v_and_b32_e32 v74, 0xffff, v74
	v_lshrrev_b32_e32 v75, 7, v74
	v_bfe_u32 v76, v74, 2, 5
	v_perm_b32 v74, v74, v73, 0x6050400
	s_delay_alu instid0(VALU_DEP_3) | instskip(NEXT) | instid1(VALU_DEP_3)
	v_lshlrev_b32_e32 v73, 31, v75
	v_cmpx_lt_i32_e32 30, v76
	s_xor_b32 s37, exec_lo, s37
; %bb.109:                              ;   in Loop: Header=BB36_3 Depth=1
	v_lshlrev_b32_e32 v73, 31, v75
	v_lshlrev_b32_e32 v74, 13, v74
                                        ; implicit-def: $vgpr76
                                        ; implicit-def: $vgpr75
	s_delay_alu instid0(VALU_DEP_1)
	v_or3_b32 v73, v74, v73, 0x7f800000
                                        ; implicit-def: $vgpr74
; %bb.110:                              ;   in Loop: Header=BB36_3 Depth=1
	s_and_not1_saveexec_b32 s37, s37
	s_cbranch_execz .LBB36_118
; %bb.111:                              ;   in Loop: Header=BB36_3 Depth=1
	v_and_b32_e32 v77, 0x3ff, v74
	s_mov_b32 s38, exec_lo
	v_cmpx_ne_u32_e32 0, v76
	s_xor_b32 s38, exec_lo, s38
; %bb.112:                              ;   in Loop: Header=BB36_3 Depth=1
	v_lshlrev_b32_e32 v73, 31, v75
	v_lshlrev_b32_e32 v74, 23, v76
	v_lshlrev_b32_e32 v75, 13, v77
                                        ; implicit-def: $vgpr77
	s_delay_alu instid0(VALU_DEP_1) | instskip(NEXT) | instid1(VALU_DEP_1)
	v_or3_b32 v73, v74, v73, v75
                                        ; implicit-def: $vgpr74
                                        ; implicit-def: $vgpr75
	v_add_nc_u32_e32 v73, 0x38000000, v73
; %bb.113:                              ;   in Loop: Header=BB36_3 Depth=1
	s_and_not1_saveexec_b32 s38, s38
	s_cbranch_execz .LBB36_117
; %bb.114:                              ;   in Loop: Header=BB36_3 Depth=1
	s_mov_b32 s39, exec_lo
	v_cmpx_ne_u32_e32 0, v77
	s_xor_b32 s39, exec_lo, s39
; %bb.115:                              ;   in Loop: Header=BB36_3 Depth=1
	v_clz_i32_u32_e32 v73, v77
	v_lshlrev_b32_e32 v75, 31, v75
	s_delay_alu instid0(VALU_DEP_2) | instskip(SKIP_1) | instid1(VALU_DEP_2)
	v_xor_b32_e32 v76, 31, v73
	v_lshlrev_b32_e32 v73, 23, v73
	v_sub_nc_u32_e32 v76, 9, v76
	s_delay_alu instid0(VALU_DEP_1) | instskip(NEXT) | instid1(VALU_DEP_1)
	v_lshlrev_b32_e32 v74, v76, v74
	v_lshlrev_b32_e32 v74, 14, v74
	s_delay_alu instid0(VALU_DEP_1) | instskip(NEXT) | instid1(VALU_DEP_1)
	v_and_or_b32 v74, 0x7fc000, v74, v75
	v_sub_nc_u32_e32 v73, v74, v73
	s_delay_alu instid0(VALU_DEP_1)
	v_add_nc_u32_e32 v73, 0x43000000, v73
; %bb.116:                              ;   in Loop: Header=BB36_3 Depth=1
	s_and_not1_saveexec_b32 s39, s39
	s_delay_alu instid0(SALU_CYCLE_1)
	s_or_b32 exec_lo, exec_lo, s39
.LBB36_117:                             ;   in Loop: Header=BB36_3 Depth=1
	s_delay_alu instid0(SALU_CYCLE_1)
	s_or_b32 exec_lo, exec_lo, s38
.LBB36_118:                             ;   in Loop: Header=BB36_3 Depth=1
	s_delay_alu instid0(SALU_CYCLE_1) | instskip(SKIP_4) | instid1(VALU_DEP_1)
	s_or_b32 exec_lo, exec_lo, s37
	global_load_u16 v74, v[17:18], off offset:2
	s_mov_b32 s37, exec_lo
	s_waitcnt vmcnt(0)
	v_lshrrev_b16 v75, 8, v74
	v_and_b32_e32 v75, 0xffff, v75
	s_delay_alu instid0(VALU_DEP_1) | instskip(SKIP_2) | instid1(VALU_DEP_3)
	v_lshrrev_b32_e32 v76, 7, v75
	v_bfe_u32 v77, v75, 2, 5
	v_perm_b32 v75, v75, v74, 0x6050400
	v_lshlrev_b32_e32 v74, 31, v76
	s_delay_alu instid0(VALU_DEP_3)
	v_cmpx_lt_i32_e32 30, v77
	s_xor_b32 s37, exec_lo, s37
; %bb.119:                              ;   in Loop: Header=BB36_3 Depth=1
	v_lshlrev_b32_e32 v74, 31, v76
	v_lshlrev_b32_e32 v75, 13, v75
                                        ; implicit-def: $vgpr77
                                        ; implicit-def: $vgpr76
	s_delay_alu instid0(VALU_DEP_1)
	v_or3_b32 v74, v75, v74, 0x7f800000
                                        ; implicit-def: $vgpr75
; %bb.120:                              ;   in Loop: Header=BB36_3 Depth=1
	s_and_not1_saveexec_b32 s37, s37
	s_cbranch_execz .LBB36_128
; %bb.121:                              ;   in Loop: Header=BB36_3 Depth=1
	v_and_b32_e32 v78, 0x3ff, v75
	s_mov_b32 s38, exec_lo
	v_cmpx_ne_u32_e32 0, v77
	s_xor_b32 s38, exec_lo, s38
; %bb.122:                              ;   in Loop: Header=BB36_3 Depth=1
	v_lshlrev_b32_e32 v74, 31, v76
	v_lshlrev_b32_e32 v75, 23, v77
	v_lshlrev_b32_e32 v76, 13, v78
                                        ; implicit-def: $vgpr78
	s_delay_alu instid0(VALU_DEP_1) | instskip(NEXT) | instid1(VALU_DEP_1)
	v_or3_b32 v74, v75, v74, v76
                                        ; implicit-def: $vgpr75
                                        ; implicit-def: $vgpr76
	v_add_nc_u32_e32 v74, 0x38000000, v74
; %bb.123:                              ;   in Loop: Header=BB36_3 Depth=1
	s_and_not1_saveexec_b32 s38, s38
	s_cbranch_execz .LBB36_127
; %bb.124:                              ;   in Loop: Header=BB36_3 Depth=1
	s_mov_b32 s39, exec_lo
	v_cmpx_ne_u32_e32 0, v78
	s_xor_b32 s39, exec_lo, s39
; %bb.125:                              ;   in Loop: Header=BB36_3 Depth=1
	v_clz_i32_u32_e32 v74, v78
	v_lshlrev_b32_e32 v76, 31, v76
	s_delay_alu instid0(VALU_DEP_2) | instskip(SKIP_1) | instid1(VALU_DEP_2)
	v_xor_b32_e32 v77, 31, v74
	v_lshlrev_b32_e32 v74, 23, v74
	v_sub_nc_u32_e32 v77, 9, v77
	s_delay_alu instid0(VALU_DEP_1) | instskip(NEXT) | instid1(VALU_DEP_1)
	v_lshlrev_b32_e32 v75, v77, v75
	v_lshlrev_b32_e32 v75, 14, v75
	s_delay_alu instid0(VALU_DEP_1) | instskip(NEXT) | instid1(VALU_DEP_1)
	v_and_or_b32 v75, 0x7fc000, v75, v76
	v_sub_nc_u32_e32 v74, v75, v74
	s_delay_alu instid0(VALU_DEP_1)
	v_add_nc_u32_e32 v74, 0x43000000, v74
; %bb.126:                              ;   in Loop: Header=BB36_3 Depth=1
	s_and_not1_saveexec_b32 s39, s39
	s_delay_alu instid0(SALU_CYCLE_1)
	s_or_b32 exec_lo, exec_lo, s39
.LBB36_127:                             ;   in Loop: Header=BB36_3 Depth=1
	s_delay_alu instid0(SALU_CYCLE_1)
	s_or_b32 exec_lo, exec_lo, s38
.LBB36_128:                             ;   in Loop: Header=BB36_3 Depth=1
	s_delay_alu instid0(SALU_CYCLE_1)
	s_or_b32 exec_lo, exec_lo, s37
	v_add_co_u32 v75, vcc_lo, v17, v72
	v_add_co_ci_u32_e32 v76, vcc_lo, 0, v18, vcc_lo
	v_add_co_u32 v77, vcc_lo, v17, v35
	v_add_co_ci_u32_e32 v78, vcc_lo, 0, v18, vcc_lo
	v_add_co_u32 v17, vcc_lo, v17, s29
	s_clause 0x1
	global_load_u8 v75, v[75:76], off offset:48
	global_load_u8 v76, v[77:78], off offset:16
	v_add_co_ci_u32_e32 v18, vcc_lo, 0, v18, vcc_lo
	s_and_not1_b32 vcc_lo, exec_lo, s33
	s_cbranch_vccnz .LBB36_130
; %bb.129:                              ;   in Loop: Header=BB36_3 Depth=1
	s_clause 0x2
	global_load_u8 v77, v[17:18], off
	global_load_u8 v78, v[17:18], off offset:4
	global_load_u8 v79, v[17:18], off offset:8
	s_waitcnt vmcnt(2)
	v_lshrrev_b16 v77, 2, v77
	s_waitcnt vmcnt(1)
	v_lshrrev_b16 v78, 2, v78
	s_waitcnt vmcnt(0)
	v_and_b32_e32 v80, 15, v79
	v_lshrrev_b16 v79, 4, v79
	v_and_b32_e32 v77, 48, v77
	v_and_b32_e32 v81, 48, v78
	s_delay_alu instid0(VALU_DEP_2) | instskip(NEXT) | instid1(VALU_DEP_2)
	v_or_b32_e32 v78, v77, v80
	v_or_b32_e32 v77, v81, v79
	s_cbranch_execz .LBB36_131
	s_branch .LBB36_132
.LBB36_130:                             ;   in Loop: Header=BB36_3 Depth=1
                                        ; implicit-def: $vgpr77
                                        ; implicit-def: $vgpr78
.LBB36_131:                             ;   in Loop: Header=BB36_3 Depth=1
	s_clause 0x1
	global_load_u8 v77, v[17:18], off offset:4
	global_load_u8 v17, v[17:18], off offset:8
	s_waitcnt vmcnt(1)
	v_and_b32_e32 v78, 63, v77
	s_waitcnt vmcnt(0)
	v_and_b32_e32 v77, 63, v17
.LBB36_132:                             ;   in Loop: Header=BB36_3 Depth=1
	s_waitcnt vmcnt(1)
	v_lshrrev_b32_e32 v17, 4, v75
	s_delay_alu instid0(VALU_DEP_1) | instskip(SKIP_3) | instid1(VALU_DEP_3)
	v_cndmask_b32_e64 v17, v17, v75, s16
	v_cvt_f32_ubyte0_e32 v75, v78
	s_waitcnt vmcnt(0)
	v_and_b32_e32 v18, s21, v76
	v_and_b32_e32 v17, 15, v17
	s_delay_alu instid0(VALU_DEP_3) | instskip(NEXT) | instid1(VALU_DEP_3)
	v_mul_f32_e32 v73, v73, v75
	v_cmp_ne_u32_e32 vcc_lo, 0, v18
	v_cndmask_b32_e64 v18, 0, 1, vcc_lo
	s_delay_alu instid0(VALU_DEP_1) | instskip(SKIP_1) | instid1(VALU_DEP_2)
	v_lshl_or_b32 v17, v18, 4, v17
	v_cvt_f32_ubyte0_e32 v18, v77
	v_cvt_f32_ubyte0_e32 v17, v17
	s_delay_alu instid0(VALU_DEP_2) | instskip(NEXT) | instid1(VALU_DEP_1)
	v_mul_f32_e32 v18, v74, v18
	v_fma_f32 v17, v73, v17, -v18
.LBB36_133:                             ;   in Loop: Header=BB36_3 Depth=1
	s_or_b32 exec_lo, exec_lo, s36
	v_mov_b32_e32 v18, 0
	ds_store_b32 v38, v17 offset:128
	s_and_saveexec_b32 s36, s5
	s_cbranch_execz .LBB36_159
; %bb.134:                              ;   in Loop: Header=BB36_3 Depth=1
	v_add_co_u32 v17, vcc_lo, s34, v11
	v_add_co_ci_u32_e32 v18, vcc_lo, s35, v12, vcc_lo
	s_mov_b32 s37, exec_lo
	global_load_u16 v73, v[17:18], off
	s_waitcnt vmcnt(0)
	v_lshrrev_b16 v74, 8, v73
	s_delay_alu instid0(VALU_DEP_1) | instskip(NEXT) | instid1(VALU_DEP_1)
	v_and_b32_e32 v74, 0xffff, v74
	v_lshrrev_b32_e32 v75, 7, v74
	v_bfe_u32 v76, v74, 2, 5
	v_perm_b32 v74, v74, v73, 0x6050400
	s_delay_alu instid0(VALU_DEP_3) | instskip(NEXT) | instid1(VALU_DEP_3)
	v_lshlrev_b32_e32 v73, 31, v75
	v_cmpx_lt_i32_e32 30, v76
	s_xor_b32 s37, exec_lo, s37
; %bb.135:                              ;   in Loop: Header=BB36_3 Depth=1
	v_lshlrev_b32_e32 v73, 31, v75
	v_lshlrev_b32_e32 v74, 13, v74
                                        ; implicit-def: $vgpr76
                                        ; implicit-def: $vgpr75
	s_delay_alu instid0(VALU_DEP_1)
	v_or3_b32 v73, v74, v73, 0x7f800000
                                        ; implicit-def: $vgpr74
; %bb.136:                              ;   in Loop: Header=BB36_3 Depth=1
	s_and_not1_saveexec_b32 s37, s37
	s_cbranch_execz .LBB36_144
; %bb.137:                              ;   in Loop: Header=BB36_3 Depth=1
	v_and_b32_e32 v77, 0x3ff, v74
	s_mov_b32 s38, exec_lo
	v_cmpx_ne_u32_e32 0, v76
	s_xor_b32 s38, exec_lo, s38
; %bb.138:                              ;   in Loop: Header=BB36_3 Depth=1
	v_lshlrev_b32_e32 v73, 31, v75
	v_lshlrev_b32_e32 v74, 23, v76
	;; [unrolled: 1-line block ×3, first 2 shown]
                                        ; implicit-def: $vgpr77
	s_delay_alu instid0(VALU_DEP_1) | instskip(NEXT) | instid1(VALU_DEP_1)
	v_or3_b32 v73, v74, v73, v75
                                        ; implicit-def: $vgpr74
                                        ; implicit-def: $vgpr75
	v_add_nc_u32_e32 v73, 0x38000000, v73
; %bb.139:                              ;   in Loop: Header=BB36_3 Depth=1
	s_and_not1_saveexec_b32 s38, s38
	s_cbranch_execz .LBB36_143
; %bb.140:                              ;   in Loop: Header=BB36_3 Depth=1
	s_mov_b32 s39, exec_lo
	v_cmpx_ne_u32_e32 0, v77
	s_xor_b32 s39, exec_lo, s39
; %bb.141:                              ;   in Loop: Header=BB36_3 Depth=1
	v_clz_i32_u32_e32 v73, v77
	v_lshlrev_b32_e32 v75, 31, v75
	s_delay_alu instid0(VALU_DEP_2) | instskip(SKIP_1) | instid1(VALU_DEP_2)
	v_xor_b32_e32 v76, 31, v73
	v_lshlrev_b32_e32 v73, 23, v73
	v_sub_nc_u32_e32 v76, 9, v76
	s_delay_alu instid0(VALU_DEP_1) | instskip(NEXT) | instid1(VALU_DEP_1)
	v_lshlrev_b32_e32 v74, v76, v74
	v_lshlrev_b32_e32 v74, 14, v74
	s_delay_alu instid0(VALU_DEP_1) | instskip(NEXT) | instid1(VALU_DEP_1)
	v_and_or_b32 v74, 0x7fc000, v74, v75
	v_sub_nc_u32_e32 v73, v74, v73
	s_delay_alu instid0(VALU_DEP_1)
	v_add_nc_u32_e32 v73, 0x43000000, v73
; %bb.142:                              ;   in Loop: Header=BB36_3 Depth=1
	s_and_not1_saveexec_b32 s39, s39
	s_delay_alu instid0(SALU_CYCLE_1)
	s_or_b32 exec_lo, exec_lo, s39
.LBB36_143:                             ;   in Loop: Header=BB36_3 Depth=1
	s_delay_alu instid0(SALU_CYCLE_1)
	s_or_b32 exec_lo, exec_lo, s38
.LBB36_144:                             ;   in Loop: Header=BB36_3 Depth=1
	s_delay_alu instid0(SALU_CYCLE_1) | instskip(SKIP_4) | instid1(VALU_DEP_1)
	s_or_b32 exec_lo, exec_lo, s37
	global_load_u16 v74, v[17:18], off offset:2
	s_mov_b32 s37, exec_lo
	s_waitcnt vmcnt(0)
	v_lshrrev_b16 v75, 8, v74
	v_and_b32_e32 v75, 0xffff, v75
	s_delay_alu instid0(VALU_DEP_1) | instskip(SKIP_2) | instid1(VALU_DEP_3)
	v_lshrrev_b32_e32 v76, 7, v75
	v_bfe_u32 v77, v75, 2, 5
	v_perm_b32 v75, v75, v74, 0x6050400
	v_lshlrev_b32_e32 v74, 31, v76
	s_delay_alu instid0(VALU_DEP_3)
	v_cmpx_lt_i32_e32 30, v77
	s_xor_b32 s37, exec_lo, s37
; %bb.145:                              ;   in Loop: Header=BB36_3 Depth=1
	v_lshlrev_b32_e32 v74, 31, v76
	v_lshlrev_b32_e32 v75, 13, v75
                                        ; implicit-def: $vgpr77
                                        ; implicit-def: $vgpr76
	s_delay_alu instid0(VALU_DEP_1)
	v_or3_b32 v74, v75, v74, 0x7f800000
                                        ; implicit-def: $vgpr75
; %bb.146:                              ;   in Loop: Header=BB36_3 Depth=1
	s_and_not1_saveexec_b32 s37, s37
	s_cbranch_execz .LBB36_154
; %bb.147:                              ;   in Loop: Header=BB36_3 Depth=1
	v_and_b32_e32 v78, 0x3ff, v75
	s_mov_b32 s38, exec_lo
	v_cmpx_ne_u32_e32 0, v77
	s_xor_b32 s38, exec_lo, s38
; %bb.148:                              ;   in Loop: Header=BB36_3 Depth=1
	v_lshlrev_b32_e32 v74, 31, v76
	v_lshlrev_b32_e32 v75, 23, v77
	;; [unrolled: 1-line block ×3, first 2 shown]
                                        ; implicit-def: $vgpr78
	s_delay_alu instid0(VALU_DEP_1) | instskip(NEXT) | instid1(VALU_DEP_1)
	v_or3_b32 v74, v75, v74, v76
                                        ; implicit-def: $vgpr75
                                        ; implicit-def: $vgpr76
	v_add_nc_u32_e32 v74, 0x38000000, v74
; %bb.149:                              ;   in Loop: Header=BB36_3 Depth=1
	s_and_not1_saveexec_b32 s38, s38
	s_cbranch_execz .LBB36_153
; %bb.150:                              ;   in Loop: Header=BB36_3 Depth=1
	s_mov_b32 s39, exec_lo
	v_cmpx_ne_u32_e32 0, v78
	s_xor_b32 s39, exec_lo, s39
; %bb.151:                              ;   in Loop: Header=BB36_3 Depth=1
	v_clz_i32_u32_e32 v74, v78
	v_lshlrev_b32_e32 v76, 31, v76
	s_delay_alu instid0(VALU_DEP_2) | instskip(SKIP_1) | instid1(VALU_DEP_2)
	v_xor_b32_e32 v77, 31, v74
	v_lshlrev_b32_e32 v74, 23, v74
	v_sub_nc_u32_e32 v77, 9, v77
	s_delay_alu instid0(VALU_DEP_1) | instskip(NEXT) | instid1(VALU_DEP_1)
	v_lshlrev_b32_e32 v75, v77, v75
	v_lshlrev_b32_e32 v75, 14, v75
	s_delay_alu instid0(VALU_DEP_1) | instskip(NEXT) | instid1(VALU_DEP_1)
	v_and_or_b32 v75, 0x7fc000, v75, v76
	v_sub_nc_u32_e32 v74, v75, v74
	s_delay_alu instid0(VALU_DEP_1)
	v_add_nc_u32_e32 v74, 0x43000000, v74
; %bb.152:                              ;   in Loop: Header=BB36_3 Depth=1
	s_and_not1_saveexec_b32 s39, s39
	s_delay_alu instid0(SALU_CYCLE_1)
	s_or_b32 exec_lo, exec_lo, s39
.LBB36_153:                             ;   in Loop: Header=BB36_3 Depth=1
	s_delay_alu instid0(SALU_CYCLE_1)
	s_or_b32 exec_lo, exec_lo, s38
.LBB36_154:                             ;   in Loop: Header=BB36_3 Depth=1
	s_delay_alu instid0(SALU_CYCLE_1)
	s_or_b32 exec_lo, exec_lo, s37
	v_add_co_u32 v75, vcc_lo, v17, v72
	v_add_co_ci_u32_e32 v76, vcc_lo, 0, v18, vcc_lo
	v_add_co_u32 v77, vcc_lo, v17, v35
	v_add_co_ci_u32_e32 v78, vcc_lo, 0, v18, vcc_lo
	v_add_co_u32 v17, vcc_lo, v17, s29
	s_clause 0x1
	global_load_u8 v75, v[75:76], off offset:48
	global_load_u8 v76, v[77:78], off offset:16
	v_add_co_ci_u32_e32 v18, vcc_lo, 0, v18, vcc_lo
	s_and_not1_b32 vcc_lo, exec_lo, s33
	s_cbranch_vccnz .LBB36_156
; %bb.155:                              ;   in Loop: Header=BB36_3 Depth=1
	s_clause 0x2
	global_load_u8 v77, v[17:18], off
	global_load_u8 v78, v[17:18], off offset:4
	global_load_u8 v79, v[17:18], off offset:8
	s_waitcnt vmcnt(2)
	v_lshrrev_b16 v77, 2, v77
	s_waitcnt vmcnt(1)
	v_lshrrev_b16 v78, 2, v78
	s_waitcnt vmcnt(0)
	v_and_b32_e32 v80, 15, v79
	v_lshrrev_b16 v79, 4, v79
	v_and_b32_e32 v77, 48, v77
	v_and_b32_e32 v81, 48, v78
	s_delay_alu instid0(VALU_DEP_2) | instskip(NEXT) | instid1(VALU_DEP_2)
	v_or_b32_e32 v78, v77, v80
	v_or_b32_e32 v77, v81, v79
	s_cbranch_execz .LBB36_157
	s_branch .LBB36_158
.LBB36_156:                             ;   in Loop: Header=BB36_3 Depth=1
                                        ; implicit-def: $vgpr77
                                        ; implicit-def: $vgpr78
.LBB36_157:                             ;   in Loop: Header=BB36_3 Depth=1
	s_clause 0x1
	global_load_u8 v77, v[17:18], off offset:4
	global_load_u8 v17, v[17:18], off offset:8
	s_waitcnt vmcnt(1)
	v_and_b32_e32 v78, 63, v77
	s_waitcnt vmcnt(0)
	v_and_b32_e32 v77, 63, v17
.LBB36_158:                             ;   in Loop: Header=BB36_3 Depth=1
	s_waitcnt vmcnt(1)
	v_lshrrev_b32_e32 v17, 4, v75
	s_delay_alu instid0(VALU_DEP_1) | instskip(SKIP_3) | instid1(VALU_DEP_3)
	v_cndmask_b32_e64 v17, v17, v75, s16
	v_cvt_f32_ubyte0_e32 v75, v78
	s_waitcnt vmcnt(0)
	v_and_b32_e32 v18, s21, v76
	v_and_b32_e32 v17, 15, v17
	s_delay_alu instid0(VALU_DEP_3) | instskip(NEXT) | instid1(VALU_DEP_3)
	v_mul_f32_e32 v73, v73, v75
	v_cmp_ne_u32_e32 vcc_lo, 0, v18
	v_cndmask_b32_e64 v18, 0, 1, vcc_lo
	s_delay_alu instid0(VALU_DEP_1) | instskip(SKIP_1) | instid1(VALU_DEP_2)
	v_lshl_or_b32 v17, v18, 4, v17
	v_cvt_f32_ubyte0_e32 v18, v77
	v_cvt_f32_ubyte0_e32 v17, v17
	s_delay_alu instid0(VALU_DEP_2) | instskip(NEXT) | instid1(VALU_DEP_1)
	v_mul_f32_e32 v18, v74, v18
	v_fma_f32 v18, v73, v17, -v18
.LBB36_159:                             ;   in Loop: Header=BB36_3 Depth=1
	s_or_b32 exec_lo, exec_lo, s36
	v_mov_b32_e32 v17, 0
	ds_store_b32 v47, v18
	s_and_saveexec_b32 s36, s6
	s_cbranch_execz .LBB36_185
; %bb.160:                              ;   in Loop: Header=BB36_3 Depth=1
	v_add_co_u32 v17, vcc_lo, s34, v13
	v_add_co_ci_u32_e32 v18, vcc_lo, s35, v14, vcc_lo
	s_mov_b32 s37, exec_lo
	global_load_u16 v73, v[17:18], off
	s_waitcnt vmcnt(0)
	v_lshrrev_b16 v74, 8, v73
	s_delay_alu instid0(VALU_DEP_1) | instskip(NEXT) | instid1(VALU_DEP_1)
	v_and_b32_e32 v74, 0xffff, v74
	v_lshrrev_b32_e32 v75, 7, v74
	v_bfe_u32 v76, v74, 2, 5
	v_perm_b32 v74, v74, v73, 0x6050400
	s_delay_alu instid0(VALU_DEP_3) | instskip(NEXT) | instid1(VALU_DEP_3)
	v_lshlrev_b32_e32 v73, 31, v75
	v_cmpx_lt_i32_e32 30, v76
	s_xor_b32 s37, exec_lo, s37
; %bb.161:                              ;   in Loop: Header=BB36_3 Depth=1
	v_lshlrev_b32_e32 v73, 31, v75
	v_lshlrev_b32_e32 v74, 13, v74
                                        ; implicit-def: $vgpr76
                                        ; implicit-def: $vgpr75
	s_delay_alu instid0(VALU_DEP_1)
	v_or3_b32 v73, v74, v73, 0x7f800000
                                        ; implicit-def: $vgpr74
; %bb.162:                              ;   in Loop: Header=BB36_3 Depth=1
	s_and_not1_saveexec_b32 s37, s37
	s_cbranch_execz .LBB36_170
; %bb.163:                              ;   in Loop: Header=BB36_3 Depth=1
	v_and_b32_e32 v77, 0x3ff, v74
	s_mov_b32 s38, exec_lo
	v_cmpx_ne_u32_e32 0, v76
	s_xor_b32 s38, exec_lo, s38
; %bb.164:                              ;   in Loop: Header=BB36_3 Depth=1
	v_lshlrev_b32_e32 v73, 31, v75
	v_lshlrev_b32_e32 v74, 23, v76
	;; [unrolled: 1-line block ×3, first 2 shown]
                                        ; implicit-def: $vgpr77
	s_delay_alu instid0(VALU_DEP_1) | instskip(NEXT) | instid1(VALU_DEP_1)
	v_or3_b32 v73, v74, v73, v75
                                        ; implicit-def: $vgpr74
                                        ; implicit-def: $vgpr75
	v_add_nc_u32_e32 v73, 0x38000000, v73
; %bb.165:                              ;   in Loop: Header=BB36_3 Depth=1
	s_and_not1_saveexec_b32 s38, s38
	s_cbranch_execz .LBB36_169
; %bb.166:                              ;   in Loop: Header=BB36_3 Depth=1
	s_mov_b32 s39, exec_lo
	v_cmpx_ne_u32_e32 0, v77
	s_xor_b32 s39, exec_lo, s39
; %bb.167:                              ;   in Loop: Header=BB36_3 Depth=1
	v_clz_i32_u32_e32 v73, v77
	v_lshlrev_b32_e32 v75, 31, v75
	s_delay_alu instid0(VALU_DEP_2) | instskip(SKIP_1) | instid1(VALU_DEP_2)
	v_xor_b32_e32 v76, 31, v73
	v_lshlrev_b32_e32 v73, 23, v73
	v_sub_nc_u32_e32 v76, 9, v76
	s_delay_alu instid0(VALU_DEP_1) | instskip(NEXT) | instid1(VALU_DEP_1)
	v_lshlrev_b32_e32 v74, v76, v74
	v_lshlrev_b32_e32 v74, 14, v74
	s_delay_alu instid0(VALU_DEP_1) | instskip(NEXT) | instid1(VALU_DEP_1)
	v_and_or_b32 v74, 0x7fc000, v74, v75
	v_sub_nc_u32_e32 v73, v74, v73
	s_delay_alu instid0(VALU_DEP_1)
	v_add_nc_u32_e32 v73, 0x43000000, v73
; %bb.168:                              ;   in Loop: Header=BB36_3 Depth=1
	s_and_not1_saveexec_b32 s39, s39
	s_delay_alu instid0(SALU_CYCLE_1)
	s_or_b32 exec_lo, exec_lo, s39
.LBB36_169:                             ;   in Loop: Header=BB36_3 Depth=1
	s_delay_alu instid0(SALU_CYCLE_1)
	s_or_b32 exec_lo, exec_lo, s38
.LBB36_170:                             ;   in Loop: Header=BB36_3 Depth=1
	s_delay_alu instid0(SALU_CYCLE_1) | instskip(SKIP_4) | instid1(VALU_DEP_1)
	s_or_b32 exec_lo, exec_lo, s37
	global_load_u16 v74, v[17:18], off offset:2
	s_mov_b32 s37, exec_lo
	s_waitcnt vmcnt(0)
	v_lshrrev_b16 v75, 8, v74
	v_and_b32_e32 v75, 0xffff, v75
	s_delay_alu instid0(VALU_DEP_1) | instskip(SKIP_2) | instid1(VALU_DEP_3)
	v_lshrrev_b32_e32 v76, 7, v75
	v_bfe_u32 v77, v75, 2, 5
	v_perm_b32 v75, v75, v74, 0x6050400
	v_lshlrev_b32_e32 v74, 31, v76
	s_delay_alu instid0(VALU_DEP_3)
	v_cmpx_lt_i32_e32 30, v77
	s_xor_b32 s37, exec_lo, s37
; %bb.171:                              ;   in Loop: Header=BB36_3 Depth=1
	v_lshlrev_b32_e32 v74, 31, v76
	v_lshlrev_b32_e32 v75, 13, v75
                                        ; implicit-def: $vgpr77
                                        ; implicit-def: $vgpr76
	s_delay_alu instid0(VALU_DEP_1)
	v_or3_b32 v74, v75, v74, 0x7f800000
                                        ; implicit-def: $vgpr75
; %bb.172:                              ;   in Loop: Header=BB36_3 Depth=1
	s_and_not1_saveexec_b32 s37, s37
	s_cbranch_execz .LBB36_180
; %bb.173:                              ;   in Loop: Header=BB36_3 Depth=1
	v_and_b32_e32 v78, 0x3ff, v75
	s_mov_b32 s38, exec_lo
	v_cmpx_ne_u32_e32 0, v77
	s_xor_b32 s38, exec_lo, s38
; %bb.174:                              ;   in Loop: Header=BB36_3 Depth=1
	v_lshlrev_b32_e32 v74, 31, v76
	v_lshlrev_b32_e32 v75, 23, v77
	v_lshlrev_b32_e32 v76, 13, v78
                                        ; implicit-def: $vgpr78
	s_delay_alu instid0(VALU_DEP_1) | instskip(NEXT) | instid1(VALU_DEP_1)
	v_or3_b32 v74, v75, v74, v76
                                        ; implicit-def: $vgpr75
                                        ; implicit-def: $vgpr76
	v_add_nc_u32_e32 v74, 0x38000000, v74
; %bb.175:                              ;   in Loop: Header=BB36_3 Depth=1
	s_and_not1_saveexec_b32 s38, s38
	s_cbranch_execz .LBB36_179
; %bb.176:                              ;   in Loop: Header=BB36_3 Depth=1
	s_mov_b32 s39, exec_lo
	v_cmpx_ne_u32_e32 0, v78
	s_xor_b32 s39, exec_lo, s39
; %bb.177:                              ;   in Loop: Header=BB36_3 Depth=1
	v_clz_i32_u32_e32 v74, v78
	v_lshlrev_b32_e32 v76, 31, v76
	s_delay_alu instid0(VALU_DEP_2) | instskip(SKIP_1) | instid1(VALU_DEP_2)
	v_xor_b32_e32 v77, 31, v74
	v_lshlrev_b32_e32 v74, 23, v74
	v_sub_nc_u32_e32 v77, 9, v77
	s_delay_alu instid0(VALU_DEP_1) | instskip(NEXT) | instid1(VALU_DEP_1)
	v_lshlrev_b32_e32 v75, v77, v75
	v_lshlrev_b32_e32 v75, 14, v75
	s_delay_alu instid0(VALU_DEP_1) | instskip(NEXT) | instid1(VALU_DEP_1)
	v_and_or_b32 v75, 0x7fc000, v75, v76
	v_sub_nc_u32_e32 v74, v75, v74
	s_delay_alu instid0(VALU_DEP_1)
	v_add_nc_u32_e32 v74, 0x43000000, v74
; %bb.178:                              ;   in Loop: Header=BB36_3 Depth=1
	s_and_not1_saveexec_b32 s39, s39
	s_delay_alu instid0(SALU_CYCLE_1)
	s_or_b32 exec_lo, exec_lo, s39
.LBB36_179:                             ;   in Loop: Header=BB36_3 Depth=1
	s_delay_alu instid0(SALU_CYCLE_1)
	s_or_b32 exec_lo, exec_lo, s38
.LBB36_180:                             ;   in Loop: Header=BB36_3 Depth=1
	s_delay_alu instid0(SALU_CYCLE_1)
	s_or_b32 exec_lo, exec_lo, s37
	v_add_co_u32 v75, vcc_lo, v17, v72
	v_add_co_ci_u32_e32 v76, vcc_lo, 0, v18, vcc_lo
	v_add_co_u32 v77, vcc_lo, v17, v35
	v_add_co_ci_u32_e32 v78, vcc_lo, 0, v18, vcc_lo
	v_add_co_u32 v17, vcc_lo, v17, s29
	s_clause 0x1
	global_load_u8 v75, v[75:76], off offset:48
	global_load_u8 v76, v[77:78], off offset:16
	v_add_co_ci_u32_e32 v18, vcc_lo, 0, v18, vcc_lo
	s_and_not1_b32 vcc_lo, exec_lo, s33
	s_cbranch_vccnz .LBB36_182
; %bb.181:                              ;   in Loop: Header=BB36_3 Depth=1
	s_clause 0x2
	global_load_u8 v77, v[17:18], off
	global_load_u8 v78, v[17:18], off offset:4
	global_load_u8 v79, v[17:18], off offset:8
	s_waitcnt vmcnt(2)
	v_lshrrev_b16 v77, 2, v77
	s_waitcnt vmcnt(1)
	v_lshrrev_b16 v78, 2, v78
	s_waitcnt vmcnt(0)
	v_and_b32_e32 v80, 15, v79
	v_lshrrev_b16 v79, 4, v79
	v_and_b32_e32 v77, 48, v77
	v_and_b32_e32 v81, 48, v78
	s_delay_alu instid0(VALU_DEP_2) | instskip(NEXT) | instid1(VALU_DEP_2)
	v_or_b32_e32 v78, v77, v80
	v_or_b32_e32 v77, v81, v79
	s_cbranch_execz .LBB36_183
	s_branch .LBB36_184
.LBB36_182:                             ;   in Loop: Header=BB36_3 Depth=1
                                        ; implicit-def: $vgpr77
                                        ; implicit-def: $vgpr78
.LBB36_183:                             ;   in Loop: Header=BB36_3 Depth=1
	s_clause 0x1
	global_load_u8 v77, v[17:18], off offset:4
	global_load_u8 v17, v[17:18], off offset:8
	s_waitcnt vmcnt(1)
	v_and_b32_e32 v78, 63, v77
	s_waitcnt vmcnt(0)
	v_and_b32_e32 v77, 63, v17
.LBB36_184:                             ;   in Loop: Header=BB36_3 Depth=1
	s_waitcnt vmcnt(1)
	v_lshrrev_b32_e32 v17, 4, v75
	s_delay_alu instid0(VALU_DEP_1) | instskip(SKIP_3) | instid1(VALU_DEP_3)
	v_cndmask_b32_e64 v17, v17, v75, s16
	v_cvt_f32_ubyte0_e32 v75, v78
	s_waitcnt vmcnt(0)
	v_and_b32_e32 v18, s21, v76
	v_and_b32_e32 v17, 15, v17
	s_delay_alu instid0(VALU_DEP_3) | instskip(NEXT) | instid1(VALU_DEP_3)
	v_mul_f32_e32 v73, v73, v75
	v_cmp_ne_u32_e32 vcc_lo, 0, v18
	v_cndmask_b32_e64 v18, 0, 1, vcc_lo
	s_delay_alu instid0(VALU_DEP_1) | instskip(SKIP_1) | instid1(VALU_DEP_2)
	v_lshl_or_b32 v17, v18, 4, v17
	v_cvt_f32_ubyte0_e32 v18, v77
	v_cvt_f32_ubyte0_e32 v17, v17
	s_delay_alu instid0(VALU_DEP_2) | instskip(NEXT) | instid1(VALU_DEP_1)
	v_mul_f32_e32 v18, v74, v18
	v_fma_f32 v17, v73, v17, -v18
.LBB36_185:                             ;   in Loop: Header=BB36_3 Depth=1
	s_or_b32 exec_lo, exec_lo, s36
	v_mov_b32_e32 v18, 0
	ds_store_b32 v49, v17
	s_and_saveexec_b32 s36, s7
	s_cbranch_execz .LBB36_211
; %bb.186:                              ;   in Loop: Header=BB36_3 Depth=1
	v_add_co_u32 v17, vcc_lo, s34, v15
	v_add_co_ci_u32_e32 v18, vcc_lo, s35, v16, vcc_lo
	s_mov_b32 s34, exec_lo
	global_load_u16 v73, v[17:18], off
	s_waitcnt vmcnt(0)
	v_lshrrev_b16 v74, 8, v73
	s_delay_alu instid0(VALU_DEP_1) | instskip(NEXT) | instid1(VALU_DEP_1)
	v_and_b32_e32 v74, 0xffff, v74
	v_lshrrev_b32_e32 v75, 7, v74
	v_bfe_u32 v76, v74, 2, 5
	v_perm_b32 v74, v74, v73, 0x6050400
	s_delay_alu instid0(VALU_DEP_3) | instskip(NEXT) | instid1(VALU_DEP_3)
	v_lshlrev_b32_e32 v73, 31, v75
	v_cmpx_lt_i32_e32 30, v76
	s_xor_b32 s34, exec_lo, s34
; %bb.187:                              ;   in Loop: Header=BB36_3 Depth=1
	v_lshlrev_b32_e32 v73, 31, v75
	v_lshlrev_b32_e32 v74, 13, v74
                                        ; implicit-def: $vgpr76
                                        ; implicit-def: $vgpr75
	s_delay_alu instid0(VALU_DEP_1)
	v_or3_b32 v73, v74, v73, 0x7f800000
                                        ; implicit-def: $vgpr74
; %bb.188:                              ;   in Loop: Header=BB36_3 Depth=1
	s_and_not1_saveexec_b32 s34, s34
	s_cbranch_execz .LBB36_196
; %bb.189:                              ;   in Loop: Header=BB36_3 Depth=1
	v_and_b32_e32 v77, 0x3ff, v74
	s_mov_b32 s35, exec_lo
	v_cmpx_ne_u32_e32 0, v76
	s_xor_b32 s35, exec_lo, s35
; %bb.190:                              ;   in Loop: Header=BB36_3 Depth=1
	v_lshlrev_b32_e32 v73, 31, v75
	v_lshlrev_b32_e32 v74, 23, v76
	;; [unrolled: 1-line block ×3, first 2 shown]
                                        ; implicit-def: $vgpr77
	s_delay_alu instid0(VALU_DEP_1) | instskip(NEXT) | instid1(VALU_DEP_1)
	v_or3_b32 v73, v74, v73, v75
                                        ; implicit-def: $vgpr74
                                        ; implicit-def: $vgpr75
	v_add_nc_u32_e32 v73, 0x38000000, v73
; %bb.191:                              ;   in Loop: Header=BB36_3 Depth=1
	s_and_not1_saveexec_b32 s35, s35
	s_cbranch_execz .LBB36_195
; %bb.192:                              ;   in Loop: Header=BB36_3 Depth=1
	s_mov_b32 s37, exec_lo
	v_cmpx_ne_u32_e32 0, v77
	s_xor_b32 s37, exec_lo, s37
; %bb.193:                              ;   in Loop: Header=BB36_3 Depth=1
	v_clz_i32_u32_e32 v73, v77
	v_lshlrev_b32_e32 v75, 31, v75
	s_delay_alu instid0(VALU_DEP_2) | instskip(SKIP_1) | instid1(VALU_DEP_2)
	v_xor_b32_e32 v76, 31, v73
	v_lshlrev_b32_e32 v73, 23, v73
	v_sub_nc_u32_e32 v76, 9, v76
	s_delay_alu instid0(VALU_DEP_1) | instskip(NEXT) | instid1(VALU_DEP_1)
	v_lshlrev_b32_e32 v74, v76, v74
	v_lshlrev_b32_e32 v74, 14, v74
	s_delay_alu instid0(VALU_DEP_1) | instskip(NEXT) | instid1(VALU_DEP_1)
	v_and_or_b32 v74, 0x7fc000, v74, v75
	v_sub_nc_u32_e32 v73, v74, v73
	s_delay_alu instid0(VALU_DEP_1)
	v_add_nc_u32_e32 v73, 0x43000000, v73
; %bb.194:                              ;   in Loop: Header=BB36_3 Depth=1
	s_and_not1_saveexec_b32 s37, s37
	s_delay_alu instid0(SALU_CYCLE_1)
	s_or_b32 exec_lo, exec_lo, s37
.LBB36_195:                             ;   in Loop: Header=BB36_3 Depth=1
	s_delay_alu instid0(SALU_CYCLE_1)
	s_or_b32 exec_lo, exec_lo, s35
.LBB36_196:                             ;   in Loop: Header=BB36_3 Depth=1
	s_delay_alu instid0(SALU_CYCLE_1) | instskip(SKIP_4) | instid1(VALU_DEP_1)
	s_or_b32 exec_lo, exec_lo, s34
	global_load_u16 v74, v[17:18], off offset:2
	s_mov_b32 s34, exec_lo
	s_waitcnt vmcnt(0)
	v_lshrrev_b16 v75, 8, v74
	v_and_b32_e32 v75, 0xffff, v75
	s_delay_alu instid0(VALU_DEP_1) | instskip(SKIP_2) | instid1(VALU_DEP_3)
	v_lshrrev_b32_e32 v76, 7, v75
	v_bfe_u32 v77, v75, 2, 5
	v_perm_b32 v75, v75, v74, 0x6050400
	v_lshlrev_b32_e32 v74, 31, v76
	s_delay_alu instid0(VALU_DEP_3)
	v_cmpx_lt_i32_e32 30, v77
	s_xor_b32 s34, exec_lo, s34
; %bb.197:                              ;   in Loop: Header=BB36_3 Depth=1
	v_lshlrev_b32_e32 v74, 31, v76
	v_lshlrev_b32_e32 v75, 13, v75
                                        ; implicit-def: $vgpr77
                                        ; implicit-def: $vgpr76
	s_delay_alu instid0(VALU_DEP_1)
	v_or3_b32 v74, v75, v74, 0x7f800000
                                        ; implicit-def: $vgpr75
; %bb.198:                              ;   in Loop: Header=BB36_3 Depth=1
	s_and_not1_saveexec_b32 s34, s34
	s_cbranch_execz .LBB36_206
; %bb.199:                              ;   in Loop: Header=BB36_3 Depth=1
	v_and_b32_e32 v78, 0x3ff, v75
	s_mov_b32 s35, exec_lo
	v_cmpx_ne_u32_e32 0, v77
	s_xor_b32 s35, exec_lo, s35
; %bb.200:                              ;   in Loop: Header=BB36_3 Depth=1
	v_lshlrev_b32_e32 v74, 31, v76
	v_lshlrev_b32_e32 v75, 23, v77
	;; [unrolled: 1-line block ×3, first 2 shown]
                                        ; implicit-def: $vgpr78
	s_delay_alu instid0(VALU_DEP_1) | instskip(NEXT) | instid1(VALU_DEP_1)
	v_or3_b32 v74, v75, v74, v76
                                        ; implicit-def: $vgpr75
                                        ; implicit-def: $vgpr76
	v_add_nc_u32_e32 v74, 0x38000000, v74
; %bb.201:                              ;   in Loop: Header=BB36_3 Depth=1
	s_and_not1_saveexec_b32 s35, s35
	s_cbranch_execz .LBB36_205
; %bb.202:                              ;   in Loop: Header=BB36_3 Depth=1
	s_mov_b32 s37, exec_lo
	v_cmpx_ne_u32_e32 0, v78
	s_xor_b32 s37, exec_lo, s37
; %bb.203:                              ;   in Loop: Header=BB36_3 Depth=1
	v_clz_i32_u32_e32 v74, v78
	v_lshlrev_b32_e32 v76, 31, v76
	s_delay_alu instid0(VALU_DEP_2) | instskip(SKIP_1) | instid1(VALU_DEP_2)
	v_xor_b32_e32 v77, 31, v74
	v_lshlrev_b32_e32 v74, 23, v74
	v_sub_nc_u32_e32 v77, 9, v77
	s_delay_alu instid0(VALU_DEP_1) | instskip(NEXT) | instid1(VALU_DEP_1)
	v_lshlrev_b32_e32 v75, v77, v75
	v_lshlrev_b32_e32 v75, 14, v75
	s_delay_alu instid0(VALU_DEP_1) | instskip(NEXT) | instid1(VALU_DEP_1)
	v_and_or_b32 v75, 0x7fc000, v75, v76
	v_sub_nc_u32_e32 v74, v75, v74
	s_delay_alu instid0(VALU_DEP_1)
	v_add_nc_u32_e32 v74, 0x43000000, v74
; %bb.204:                              ;   in Loop: Header=BB36_3 Depth=1
	s_and_not1_saveexec_b32 s37, s37
	s_delay_alu instid0(SALU_CYCLE_1)
	s_or_b32 exec_lo, exec_lo, s37
.LBB36_205:                             ;   in Loop: Header=BB36_3 Depth=1
	s_delay_alu instid0(SALU_CYCLE_1)
	s_or_b32 exec_lo, exec_lo, s35
.LBB36_206:                             ;   in Loop: Header=BB36_3 Depth=1
	s_delay_alu instid0(SALU_CYCLE_1)
	s_or_b32 exec_lo, exec_lo, s34
	v_add_co_u32 v75, vcc_lo, v17, v72
	v_add_co_ci_u32_e32 v76, vcc_lo, 0, v18, vcc_lo
	v_add_co_u32 v77, vcc_lo, v17, v35
	v_add_co_ci_u32_e32 v78, vcc_lo, 0, v18, vcc_lo
	v_add_co_u32 v17, vcc_lo, v17, s29
	s_clause 0x1
	global_load_u8 v72, v[75:76], off offset:48
	global_load_u8 v75, v[77:78], off offset:16
	v_add_co_ci_u32_e32 v18, vcc_lo, 0, v18, vcc_lo
	s_and_not1_b32 vcc_lo, exec_lo, s33
	s_cbranch_vccnz .LBB36_208
; %bb.207:                              ;   in Loop: Header=BB36_3 Depth=1
	s_clause 0x2
	global_load_u8 v76, v[17:18], off
	global_load_u8 v77, v[17:18], off offset:4
	global_load_u8 v78, v[17:18], off offset:8
	s_waitcnt vmcnt(2)
	v_lshrrev_b16 v76, 2, v76
	s_waitcnt vmcnt(1)
	v_lshrrev_b16 v77, 2, v77
	s_waitcnt vmcnt(0)
	v_and_b32_e32 v79, 15, v78
	v_lshrrev_b16 v78, 4, v78
	v_and_b32_e32 v76, 48, v76
	v_and_b32_e32 v80, 48, v77
	s_delay_alu instid0(VALU_DEP_2) | instskip(NEXT) | instid1(VALU_DEP_2)
	v_or_b32_e32 v77, v76, v79
	v_or_b32_e32 v76, v80, v78
	s_cbranch_execz .LBB36_209
	s_branch .LBB36_210
.LBB36_208:                             ;   in Loop: Header=BB36_3 Depth=1
                                        ; implicit-def: $vgpr76
                                        ; implicit-def: $vgpr77
.LBB36_209:                             ;   in Loop: Header=BB36_3 Depth=1
	s_clause 0x1
	global_load_u8 v76, v[17:18], off offset:4
	global_load_u8 v17, v[17:18], off offset:8
	s_waitcnt vmcnt(1)
	v_and_b32_e32 v77, 63, v76
	s_waitcnt vmcnt(0)
	v_and_b32_e32 v76, 63, v17
.LBB36_210:                             ;   in Loop: Header=BB36_3 Depth=1
	s_waitcnt vmcnt(1)
	v_lshrrev_b32_e32 v17, 4, v72
	s_waitcnt vmcnt(0)
	v_and_b32_e32 v18, s21, v75
	s_delay_alu instid0(VALU_DEP_2) | instskip(NEXT) | instid1(VALU_DEP_2)
	v_cndmask_b32_e64 v17, v17, v72, s16
	v_cmp_ne_u32_e32 vcc_lo, 0, v18
	v_cvt_f32_ubyte0_e32 v72, v77
	s_delay_alu instid0(VALU_DEP_3) | instskip(SKIP_1) | instid1(VALU_DEP_3)
	v_and_b32_e32 v17, 15, v17
	v_cndmask_b32_e64 v18, 0, 1, vcc_lo
	v_mul_f32_e32 v72, v73, v72
	s_delay_alu instid0(VALU_DEP_2) | instskip(SKIP_1) | instid1(VALU_DEP_2)
	v_lshl_or_b32 v17, v18, 4, v17
	v_cvt_f32_ubyte0_e32 v18, v76
	v_cvt_f32_ubyte0_e32 v17, v17
	s_delay_alu instid0(VALU_DEP_2) | instskip(NEXT) | instid1(VALU_DEP_1)
	v_mul_f32_e32 v18, v74, v18
	v_fma_f32 v18, v72, v17, -v18
.LBB36_211:                             ;   in Loop: Header=BB36_3 Depth=1
	s_or_b32 exec_lo, exec_lo, s36
	v_dual_mov_b32 v17, 0 :: v_dual_mov_b32 v72, 0
	ds_store_b32 v52, v18
	s_and_saveexec_b32 s16, s8
	s_cbranch_execz .LBB36_213
; %bb.212:                              ;   in Loop: Header=BB36_3 Depth=1
	v_add_co_u32 v72, vcc_lo, v70, v55
	v_add_co_ci_u32_e32 v73, vcc_lo, 0, v71, vcc_lo
	global_load_b32 v72, v[72:73], off
.LBB36_213:                             ;   in Loop: Header=BB36_3 Depth=1
	s_or_b32 exec_lo, exec_lo, s16
	s_waitcnt vmcnt(0)
	ds_store_b32 v37, v72
	s_and_saveexec_b32 s16, s9
	s_cbranch_execz .LBB36_215
; %bb.214:                              ;   in Loop: Header=BB36_3 Depth=1
	v_add_co_u32 v17, vcc_lo, v68, v55
	v_add_co_ci_u32_e32 v18, vcc_lo, 0, v69, vcc_lo
	global_load_b32 v17, v[17:18], off
.LBB36_215:                             ;   in Loop: Header=BB36_3 Depth=1
	s_or_b32 exec_lo, exec_lo, s16
	v_mov_b32_e32 v18, 0
	v_mov_b32_e32 v72, 0
	s_waitcnt vmcnt(0)
	ds_store_b32 v40, v17
	s_and_saveexec_b32 s16, s10
	s_cbranch_execz .LBB36_217
; %bb.216:                              ;   in Loop: Header=BB36_3 Depth=1
	v_add_co_u32 v72, vcc_lo, v66, v55
	v_add_co_ci_u32_e32 v73, vcc_lo, 0, v67, vcc_lo
	global_load_b32 v72, v[72:73], off
.LBB36_217:                             ;   in Loop: Header=BB36_3 Depth=1
	s_or_b32 exec_lo, exec_lo, s16
	s_waitcnt vmcnt(0)
	ds_store_b32 v42, v72
	s_and_saveexec_b32 s16, s11
	s_cbranch_execz .LBB36_219
; %bb.218:                              ;   in Loop: Header=BB36_3 Depth=1
	v_add_co_u32 v17, vcc_lo, v64, v55
	v_add_co_ci_u32_e32 v18, vcc_lo, 0, v65, vcc_lo
	global_load_b32 v18, v[17:18], off
.LBB36_219:                             ;   in Loop: Header=BB36_3 Depth=1
	s_or_b32 exec_lo, exec_lo, s16
	v_dual_mov_b32 v17, 0 :: v_dual_mov_b32 v72, 0
	s_waitcnt vmcnt(0)
	ds_store_b32 v44, v18
	s_and_saveexec_b32 s16, s12
	s_cbranch_execz .LBB36_221
; %bb.220:                              ;   in Loop: Header=BB36_3 Depth=1
	v_add_co_u32 v72, vcc_lo, v62, v55
	v_add_co_ci_u32_e32 v73, vcc_lo, 0, v63, vcc_lo
	global_load_b32 v72, v[72:73], off
.LBB36_221:                             ;   in Loop: Header=BB36_3 Depth=1
	s_or_b32 exec_lo, exec_lo, s16
	s_waitcnt vmcnt(0)
	ds_store_b32 v37, v72 offset:128
	s_and_saveexec_b32 s16, s13
	s_cbranch_execz .LBB36_223
; %bb.222:                              ;   in Loop: Header=BB36_3 Depth=1
	v_add_co_u32 v17, vcc_lo, v60, v55
	v_add_co_ci_u32_e32 v18, vcc_lo, 0, v61, vcc_lo
	global_load_b32 v17, v[17:18], off
.LBB36_223:                             ;   in Loop: Header=BB36_3 Depth=1
	s_or_b32 exec_lo, exec_lo, s16
	v_mov_b32_e32 v18, 0
	v_mov_b32_e32 v72, 0
	s_waitcnt vmcnt(0)
	ds_store_b32 v0, v17
	s_and_saveexec_b32 s16, s14
	s_cbranch_execz .LBB36_225
; %bb.224:                              ;   in Loop: Header=BB36_3 Depth=1
	v_add_co_u32 v72, vcc_lo, v58, v55
	v_add_co_ci_u32_e32 v73, vcc_lo, 0, v59, vcc_lo
	global_load_b32 v72, v[72:73], off
.LBB36_225:                             ;   in Loop: Header=BB36_3 Depth=1
	s_or_b32 exec_lo, exec_lo, s16
	s_waitcnt vmcnt(0)
	ds_store_b32 v48, v72
	s_and_saveexec_b32 s16, s15
	s_cbranch_execz .LBB36_2
; %bb.226:                              ;   in Loop: Header=BB36_3 Depth=1
	v_add_co_u32 v17, vcc_lo, v56, v55
	v_add_co_ci_u32_e32 v18, vcc_lo, 0, v57, vcc_lo
	global_load_b32 v18, v[17:18], off
	s_branch .LBB36_2
.LBB36_227:
                                        ; implicit-def: $vgpr51
                                        ; implicit-def: $vgpr45
                                        ; implicit-def: $vgpr39
                                        ; implicit-def: $vgpr36
                                        ; implicit-def: $vgpr34
                                        ; implicit-def: $vgpr33
                                        ; implicit-def: $vgpr28
                                        ; implicit-def: $vgpr27
                                        ; implicit-def: $vgpr26
                                        ; implicit-def: $vgpr25
                                        ; implicit-def: $vgpr24
                                        ; implicit-def: $vgpr23
                                        ; implicit-def: $vgpr22
                                        ; implicit-def: $vgpr21
                                        ; implicit-def: $vgpr20
                                        ; implicit-def: $vgpr19
                                        ; implicit-def: $vgpr30
                                        ; implicit-def: $vgpr32
	s_cbranch_execnz .LBB36_229
	s_branch .LBB36_230
.LBB36_228:
	s_branch .LBB36_230
.LBB36_229:
	v_dual_mov_b32 v19, 0 :: v_dual_mov_b32 v32, v31
	v_dual_mov_b32 v30, v29 :: v_dual_mov_b32 v21, 0
	;; [unrolled: 1-line block ×9, first 2 shown]
.LBB36_230:
	v_add_nc_u32_e32 v5, s23, v30
	v_or_b32_e32 v4, s30, v32
	s_lshr_b32 s6, s26, 2
	s_cmp_lg_u32 s27, 0
	s_cselect_b32 s2, -1, 0
	v_cmp_gt_u32_e64 s4, s20, v5
	v_cmp_gt_u32_e64 s0, s22, v4
	v_add_nc_u32_e32 v0, s6, v5
	v_cndmask_b32_e64 v3, 0, 1, s2
	s_delay_alu instid0(VALU_DEP_3) | instskip(NEXT) | instid1(SALU_CYCLE_1)
	s_and_b32 s3, s4, s0
	s_and_saveexec_b32 s1, s3
	s_cbranch_execz .LBB36_234
; %bb.231:
	v_mad_u64_u32 v[1:2], null, v4, s20, v[0:1]
	v_mov_b32_e32 v2, 0
	s_delay_alu instid0(VALU_DEP_1) | instskip(NEXT) | instid1(VALU_DEP_1)
	v_lshlrev_b64 v[1:2], 2, v[1:2]
	v_add_co_u32 v1, vcc_lo, s24, v1
	s_delay_alu instid0(VALU_DEP_2)
	v_add_co_ci_u32_e32 v2, vcc_lo, s25, v2, vcc_lo
	s_and_not1_b32 vcc_lo, exec_lo, s2
	s_cbranch_vccnz .LBB36_233
; %bb.232:
	global_load_b32 v6, v[1:2], off
	s_waitcnt vmcnt(0)
	v_add_f32_e32 v51, v51, v6
.LBB36_233:
	global_store_b32 v[1:2], v51, off
.LBB36_234:
	s_or_b32 exec_lo, exec_lo, s1
	v_or_b32_e32 v6, 1, v4
	s_delay_alu instid0(VALU_DEP_1) | instskip(NEXT) | instid1(VALU_DEP_1)
	v_cmp_gt_u32_e64 s1, s22, v6
	s_and_b32 s2, s4, s1
	s_delay_alu instid0(SALU_CYCLE_1)
	s_and_saveexec_b32 s3, s2
	s_cbranch_execz .LBB36_238
; %bb.235:
	v_mad_u64_u32 v[1:2], null, v6, s20, v[0:1]
	v_mov_b32_e32 v2, 0
	v_cmp_ne_u32_e32 vcc_lo, 1, v3
	s_delay_alu instid0(VALU_DEP_2) | instskip(NEXT) | instid1(VALU_DEP_1)
	v_lshlrev_b64 v[1:2], 2, v[1:2]
	v_add_co_u32 v1, s2, s24, v1
	s_delay_alu instid0(VALU_DEP_1)
	v_add_co_ci_u32_e64 v2, s2, s25, v2, s2
	s_cbranch_vccnz .LBB36_237
; %bb.236:
	global_load_b32 v7, v[1:2], off
	s_waitcnt vmcnt(0)
	v_add_f32_e32 v45, v45, v7
.LBB36_237:
	global_store_b32 v[1:2], v45, off
.LBB36_238:
	s_or_b32 exec_lo, exec_lo, s3
	v_or_b32_e32 v7, 2, v4
	s_delay_alu instid0(VALU_DEP_1) | instskip(NEXT) | instid1(VALU_DEP_1)
	v_cmp_gt_u32_e64 s2, s22, v7
	s_and_b32 s3, s4, s2
	s_delay_alu instid0(SALU_CYCLE_1)
	s_and_saveexec_b32 s5, s3
	s_cbranch_execz .LBB36_242
; %bb.239:
	v_mad_u64_u32 v[1:2], null, v7, s20, v[0:1]
	v_mov_b32_e32 v2, 0
	v_cmp_ne_u32_e32 vcc_lo, 1, v3
	s_delay_alu instid0(VALU_DEP_2) | instskip(NEXT) | instid1(VALU_DEP_1)
	v_lshlrev_b64 v[1:2], 2, v[1:2]
	v_add_co_u32 v1, s3, s24, v1
	s_delay_alu instid0(VALU_DEP_1)
	v_add_co_ci_u32_e64 v2, s3, s25, v2, s3
	s_cbranch_vccnz .LBB36_241
; %bb.240:
	global_load_b32 v8, v[1:2], off
	s_waitcnt vmcnt(0)
	v_add_f32_e32 v39, v39, v8
.LBB36_241:
	global_store_b32 v[1:2], v39, off
.LBB36_242:
	;; [unrolled: 25-line block ×3, first 2 shown]
	s_or_b32 exec_lo, exec_lo, s5
	v_or_b32_e32 v0, 1, v5
	s_delay_alu instid0(VALU_DEP_1) | instskip(SKIP_1) | instid1(VALU_DEP_2)
	v_cmp_gt_u32_e64 s4, s20, v0
	v_add_nc_u32_e32 v0, s6, v0
	s_and_b32 s5, s4, s0
	s_delay_alu instid0(SALU_CYCLE_1)
	s_and_saveexec_b32 s7, s5
	s_cbranch_execnz .LBB36_250
; %bb.247:
	s_or_b32 exec_lo, exec_lo, s7
	s_and_b32 s5, s4, s1
	s_delay_alu instid0(SALU_CYCLE_1)
	s_and_saveexec_b32 s7, s5
	s_cbranch_execnz .LBB36_253
.LBB36_248:
	s_or_b32 exec_lo, exec_lo, s7
	s_and_b32 s5, s4, s2
	s_delay_alu instid0(SALU_CYCLE_1)
	s_and_saveexec_b32 s7, s5
	s_cbranch_execnz .LBB36_256
.LBB36_249:
	s_or_b32 exec_lo, exec_lo, s7
	s_and_b32 s4, s4, s3
	s_delay_alu instid0(SALU_CYCLE_1)
	s_and_saveexec_b32 s5, s4
	s_cbranch_execnz .LBB36_259
	s_branch .LBB36_262
.LBB36_250:
	s_delay_alu instid0(VALU_DEP_1) | instskip(SKIP_2) | instid1(VALU_DEP_2)
	v_mad_u64_u32 v[1:2], null, v4, s20, v[0:1]
	v_mov_b32_e32 v2, 0
	v_cmp_ne_u32_e32 vcc_lo, 1, v3
	v_lshlrev_b64 v[1:2], 2, v[1:2]
	s_delay_alu instid0(VALU_DEP_1) | instskip(NEXT) | instid1(VALU_DEP_1)
	v_add_co_u32 v1, s5, s24, v1
	v_add_co_ci_u32_e64 v2, s5, s25, v2, s5
	s_cbranch_vccnz .LBB36_252
; %bb.251:
	global_load_b32 v9, v[1:2], off
	s_waitcnt vmcnt(0)
	v_add_f32_e32 v34, v34, v9
.LBB36_252:
	global_store_b32 v[1:2], v34, off
	s_or_b32 exec_lo, exec_lo, s7
	s_and_b32 s5, s4, s1
	s_delay_alu instid0(SALU_CYCLE_1)
	s_and_saveexec_b32 s7, s5
	s_cbranch_execz .LBB36_248
.LBB36_253:
	v_mad_u64_u32 v[1:2], null, v6, s20, v[0:1]
	v_mov_b32_e32 v2, 0
	v_cmp_ne_u32_e32 vcc_lo, 1, v3
	s_delay_alu instid0(VALU_DEP_2) | instskip(NEXT) | instid1(VALU_DEP_1)
	v_lshlrev_b64 v[1:2], 2, v[1:2]
	v_add_co_u32 v1, s5, s24, v1
	s_delay_alu instid0(VALU_DEP_1)
	v_add_co_ci_u32_e64 v2, s5, s25, v2, s5
	s_cbranch_vccnz .LBB36_255
; %bb.254:
	global_load_b32 v9, v[1:2], off
	s_waitcnt vmcnt(0)
	v_add_f32_e32 v33, v33, v9
.LBB36_255:
	global_store_b32 v[1:2], v33, off
	s_or_b32 exec_lo, exec_lo, s7
	s_and_b32 s5, s4, s2
	s_delay_alu instid0(SALU_CYCLE_1)
	s_and_saveexec_b32 s7, s5
	s_cbranch_execz .LBB36_249
.LBB36_256:
	v_mad_u64_u32 v[1:2], null, v7, s20, v[0:1]
	v_mov_b32_e32 v2, 0
	v_cmp_ne_u32_e32 vcc_lo, 1, v3
	s_delay_alu instid0(VALU_DEP_2) | instskip(NEXT) | instid1(VALU_DEP_1)
	v_lshlrev_b64 v[1:2], 2, v[1:2]
	v_add_co_u32 v1, s5, s24, v1
	s_delay_alu instid0(VALU_DEP_1)
	v_add_co_ci_u32_e64 v2, s5, s25, v2, s5
	s_cbranch_vccnz .LBB36_258
; %bb.257:
	global_load_b32 v9, v[1:2], off
	s_waitcnt vmcnt(0)
	v_add_f32_e32 v28, v28, v9
.LBB36_258:
	global_store_b32 v[1:2], v28, off
	s_or_b32 exec_lo, exec_lo, s7
	s_and_b32 s4, s4, s3
	s_delay_alu instid0(SALU_CYCLE_1)
	s_and_saveexec_b32 s5, s4
	s_cbranch_execz .LBB36_262
.LBB36_259:
	v_mad_u64_u32 v[1:2], null, v8, s20, v[0:1]
	v_mov_b32_e32 v2, 0
	v_cmp_ne_u32_e32 vcc_lo, 1, v3
	s_delay_alu instid0(VALU_DEP_2) | instskip(NEXT) | instid1(VALU_DEP_1)
	v_lshlrev_b64 v[0:1], 2, v[1:2]
	v_add_co_u32 v0, s4, s24, v0
	s_delay_alu instid0(VALU_DEP_1)
	v_add_co_ci_u32_e64 v1, s4, s25, v1, s4
	s_cbranch_vccnz .LBB36_261
; %bb.260:
	global_load_b32 v2, v[0:1], off
	s_waitcnt vmcnt(0)
	v_add_f32_e32 v27, v27, v2
.LBB36_261:
	global_store_b32 v[0:1], v27, off
.LBB36_262:
	s_or_b32 exec_lo, exec_lo, s5
	v_or_b32_e32 v0, 2, v5
	s_delay_alu instid0(VALU_DEP_1) | instskip(SKIP_1) | instid1(VALU_DEP_2)
	v_cmp_gt_u32_e64 s4, s20, v0
	v_add_nc_u32_e32 v0, s6, v0
	s_and_b32 s5, s4, s0
	s_delay_alu instid0(SALU_CYCLE_1)
	s_and_saveexec_b32 s7, s5
	s_cbranch_execnz .LBB36_266
; %bb.263:
	s_or_b32 exec_lo, exec_lo, s7
	s_and_b32 s5, s4, s1
	s_delay_alu instid0(SALU_CYCLE_1)
	s_and_saveexec_b32 s7, s5
	s_cbranch_execnz .LBB36_269
.LBB36_264:
	s_or_b32 exec_lo, exec_lo, s7
	s_and_b32 s5, s4, s2
	s_delay_alu instid0(SALU_CYCLE_1)
	s_and_saveexec_b32 s7, s5
	s_cbranch_execnz .LBB36_272
.LBB36_265:
	s_or_b32 exec_lo, exec_lo, s7
	s_and_b32 s4, s4, s3
	s_delay_alu instid0(SALU_CYCLE_1)
	s_and_saveexec_b32 s5, s4
	s_cbranch_execnz .LBB36_275
	s_branch .LBB36_278
.LBB36_266:
	s_delay_alu instid0(VALU_DEP_1) | instskip(SKIP_2) | instid1(VALU_DEP_2)
	v_mad_u64_u32 v[1:2], null, v4, s20, v[0:1]
	v_mov_b32_e32 v2, 0
	v_cmp_ne_u32_e32 vcc_lo, 1, v3
	v_lshlrev_b64 v[1:2], 2, v[1:2]
	s_delay_alu instid0(VALU_DEP_1) | instskip(NEXT) | instid1(VALU_DEP_1)
	v_add_co_u32 v1, s5, s24, v1
	v_add_co_ci_u32_e64 v2, s5, s25, v2, s5
	s_cbranch_vccnz .LBB36_268
; %bb.267:
	global_load_b32 v9, v[1:2], off
	s_waitcnt vmcnt(0)
	v_add_f32_e32 v26, v26, v9
.LBB36_268:
	global_store_b32 v[1:2], v26, off
	s_or_b32 exec_lo, exec_lo, s7
	s_and_b32 s5, s4, s1
	s_delay_alu instid0(SALU_CYCLE_1)
	s_and_saveexec_b32 s7, s5
	s_cbranch_execz .LBB36_264
.LBB36_269:
	v_mad_u64_u32 v[1:2], null, v6, s20, v[0:1]
	v_mov_b32_e32 v2, 0
	v_cmp_ne_u32_e32 vcc_lo, 1, v3
	s_delay_alu instid0(VALU_DEP_2) | instskip(NEXT) | instid1(VALU_DEP_1)
	v_lshlrev_b64 v[1:2], 2, v[1:2]
	v_add_co_u32 v1, s5, s24, v1
	s_delay_alu instid0(VALU_DEP_1)
	v_add_co_ci_u32_e64 v2, s5, s25, v2, s5
	s_cbranch_vccnz .LBB36_271
; %bb.270:
	global_load_b32 v9, v[1:2], off
	s_waitcnt vmcnt(0)
	v_add_f32_e32 v25, v25, v9
.LBB36_271:
	global_store_b32 v[1:2], v25, off
	s_or_b32 exec_lo, exec_lo, s7
	s_and_b32 s5, s4, s2
	s_delay_alu instid0(SALU_CYCLE_1)
	s_and_saveexec_b32 s7, s5
	s_cbranch_execz .LBB36_265
.LBB36_272:
	v_mad_u64_u32 v[1:2], null, v7, s20, v[0:1]
	v_mov_b32_e32 v2, 0
	v_cmp_ne_u32_e32 vcc_lo, 1, v3
	s_delay_alu instid0(VALU_DEP_2) | instskip(NEXT) | instid1(VALU_DEP_1)
	v_lshlrev_b64 v[1:2], 2, v[1:2]
	v_add_co_u32 v1, s5, s24, v1
	s_delay_alu instid0(VALU_DEP_1)
	v_add_co_ci_u32_e64 v2, s5, s25, v2, s5
	s_cbranch_vccnz .LBB36_274
; %bb.273:
	global_load_b32 v9, v[1:2], off
	s_waitcnt vmcnt(0)
	v_add_f32_e32 v24, v24, v9
.LBB36_274:
	global_store_b32 v[1:2], v24, off
	s_or_b32 exec_lo, exec_lo, s7
	s_and_b32 s4, s4, s3
	s_delay_alu instid0(SALU_CYCLE_1)
	s_and_saveexec_b32 s5, s4
	s_cbranch_execz .LBB36_278
.LBB36_275:
	v_mad_u64_u32 v[1:2], null, v8, s20, v[0:1]
	v_mov_b32_e32 v2, 0
	v_cmp_ne_u32_e32 vcc_lo, 1, v3
	s_delay_alu instid0(VALU_DEP_2) | instskip(NEXT) | instid1(VALU_DEP_1)
	v_lshlrev_b64 v[0:1], 2, v[1:2]
	v_add_co_u32 v0, s4, s24, v0
	s_delay_alu instid0(VALU_DEP_1)
	v_add_co_ci_u32_e64 v1, s4, s25, v1, s4
	s_cbranch_vccnz .LBB36_277
; %bb.276:
	global_load_b32 v2, v[0:1], off
	s_waitcnt vmcnt(0)
	v_add_f32_e32 v23, v23, v2
.LBB36_277:
	global_store_b32 v[0:1], v23, off
.LBB36_278:
	s_or_b32 exec_lo, exec_lo, s5
	v_or_b32_e32 v0, 3, v5
	s_delay_alu instid0(VALU_DEP_1) | instskip(SKIP_1) | instid1(VALU_DEP_2)
	v_cmp_gt_u32_e64 s4, s20, v0
	v_add_nc_u32_e32 v0, s6, v0
	s_and_b32 s0, s4, s0
	s_delay_alu instid0(SALU_CYCLE_1)
	s_and_saveexec_b32 s5, s0
	s_cbranch_execnz .LBB36_283
; %bb.279:
	s_or_b32 exec_lo, exec_lo, s5
	s_and_b32 s0, s4, s1
	s_delay_alu instid0(SALU_CYCLE_1)
	s_and_saveexec_b32 s1, s0
	s_cbranch_execnz .LBB36_286
.LBB36_280:
	s_or_b32 exec_lo, exec_lo, s1
	s_and_b32 s0, s4, s2
	s_delay_alu instid0(SALU_CYCLE_1)
	s_and_saveexec_b32 s1, s0
	s_cbranch_execnz .LBB36_289
.LBB36_281:
	s_or_b32 exec_lo, exec_lo, s1
	s_and_b32 s0, s4, s3
	s_delay_alu instid0(SALU_CYCLE_1)
	s_and_saveexec_b32 s1, s0
	s_cbranch_execnz .LBB36_292
.LBB36_282:
	s_nop 0
	s_sendmsg sendmsg(MSG_DEALLOC_VGPRS)
	s_endpgm
.LBB36_283:
	s_delay_alu instid0(VALU_DEP_1) | instskip(SKIP_2) | instid1(VALU_DEP_2)
	v_mad_u64_u32 v[1:2], null, v4, s20, v[0:1]
	v_mov_b32_e32 v2, 0
	v_cmp_ne_u32_e32 vcc_lo, 1, v3
	v_lshlrev_b64 v[1:2], 2, v[1:2]
	s_delay_alu instid0(VALU_DEP_1) | instskip(NEXT) | instid1(VALU_DEP_1)
	v_add_co_u32 v1, s0, s24, v1
	v_add_co_ci_u32_e64 v2, s0, s25, v2, s0
	s_cbranch_vccnz .LBB36_285
; %bb.284:
	global_load_b32 v4, v[1:2], off
	s_waitcnt vmcnt(0)
	v_add_f32_e32 v22, v22, v4
.LBB36_285:
	global_store_b32 v[1:2], v22, off
	s_or_b32 exec_lo, exec_lo, s5
	s_and_b32 s0, s4, s1
	s_delay_alu instid0(SALU_CYCLE_1)
	s_and_saveexec_b32 s1, s0
	s_cbranch_execz .LBB36_280
.LBB36_286:
	v_mad_u64_u32 v[1:2], null, v6, s20, v[0:1]
	v_mov_b32_e32 v2, 0
	v_cmp_ne_u32_e32 vcc_lo, 1, v3
	s_delay_alu instid0(VALU_DEP_2) | instskip(NEXT) | instid1(VALU_DEP_1)
	v_lshlrev_b64 v[1:2], 2, v[1:2]
	v_add_co_u32 v1, s0, s24, v1
	s_delay_alu instid0(VALU_DEP_1)
	v_add_co_ci_u32_e64 v2, s0, s25, v2, s0
	s_cbranch_vccnz .LBB36_288
; %bb.287:
	global_load_b32 v4, v[1:2], off
	s_waitcnt vmcnt(0)
	v_add_f32_e32 v21, v21, v4
.LBB36_288:
	global_store_b32 v[1:2], v21, off
	s_or_b32 exec_lo, exec_lo, s1
	s_and_b32 s0, s4, s2
	s_delay_alu instid0(SALU_CYCLE_1)
	s_and_saveexec_b32 s1, s0
	s_cbranch_execz .LBB36_281
.LBB36_289:
	v_mad_u64_u32 v[1:2], null, v7, s20, v[0:1]
	v_mov_b32_e32 v2, 0
	v_cmp_ne_u32_e32 vcc_lo, 1, v3
	s_delay_alu instid0(VALU_DEP_2) | instskip(NEXT) | instid1(VALU_DEP_1)
	v_lshlrev_b64 v[1:2], 2, v[1:2]
	v_add_co_u32 v1, s0, s24, v1
	s_delay_alu instid0(VALU_DEP_1)
	v_add_co_ci_u32_e64 v2, s0, s25, v2, s0
	s_cbranch_vccnz .LBB36_291
; %bb.290:
	global_load_b32 v4, v[1:2], off
	s_waitcnt vmcnt(0)
	v_add_f32_e32 v20, v20, v4
.LBB36_291:
	global_store_b32 v[1:2], v20, off
	s_or_b32 exec_lo, exec_lo, s1
	s_and_b32 s0, s4, s3
	s_delay_alu instid0(SALU_CYCLE_1)
	s_and_saveexec_b32 s1, s0
	s_cbranch_execz .LBB36_282
.LBB36_292:
	v_mad_u64_u32 v[1:2], null, v8, s20, v[0:1]
	v_mov_b32_e32 v2, 0
	v_cmp_ne_u32_e32 vcc_lo, 1, v3
	s_delay_alu instid0(VALU_DEP_2) | instskip(NEXT) | instid1(VALU_DEP_1)
	v_lshlrev_b64 v[0:1], 2, v[1:2]
	v_add_co_u32 v0, s0, s24, v0
	s_delay_alu instid0(VALU_DEP_1)
	v_add_co_ci_u32_e64 v1, s0, s25, v1, s0
	s_cbranch_vccnz .LBB36_294
; %bb.293:
	global_load_b32 v2, v[0:1], off
	s_waitcnt vmcnt(0)
	v_add_f32_e32 v19, v19, v2
.LBB36_294:
	global_store_b32 v[0:1], v19, off
	s_nop 0
	s_sendmsg sendmsg(MSG_DEALLOC_VGPRS)
	s_endpgm
	.section	.rodata,"a",@progbits
	.p2align	6, 0x0
	.amdhsa_kernel gemm_q5k_tiled_v2
		.amdhsa_group_segment_fixed_size 16384
		.amdhsa_private_segment_fixed_size 0
		.amdhsa_kernarg_size 52
		.amdhsa_user_sgpr_count 14
		.amdhsa_user_sgpr_dispatch_ptr 0
		.amdhsa_user_sgpr_queue_ptr 0
		.amdhsa_user_sgpr_kernarg_segment_ptr 1
		.amdhsa_user_sgpr_dispatch_id 0
		.amdhsa_user_sgpr_private_segment_size 0
		.amdhsa_wavefront_size32 1
		.amdhsa_uses_dynamic_stack 0
		.amdhsa_enable_private_segment 0
		.amdhsa_system_sgpr_workgroup_id_x 1
		.amdhsa_system_sgpr_workgroup_id_y 1
		.amdhsa_system_sgpr_workgroup_id_z 0
		.amdhsa_system_sgpr_workgroup_info 0
		.amdhsa_system_vgpr_workitem_id 0
		.amdhsa_next_free_vgpr 96
		.amdhsa_next_free_sgpr 40
		.amdhsa_reserve_vcc 1
		.amdhsa_float_round_mode_32 0
		.amdhsa_float_round_mode_16_64 0
		.amdhsa_float_denorm_mode_32 3
		.amdhsa_float_denorm_mode_16_64 3
		.amdhsa_dx10_clamp 1
		.amdhsa_ieee_mode 1
		.amdhsa_fp16_overflow 0
		.amdhsa_workgroup_processor_mode 1
		.amdhsa_memory_ordered 1
		.amdhsa_forward_progress 0
		.amdhsa_shared_vgpr_count 0
		.amdhsa_exception_fp_ieee_invalid_op 0
		.amdhsa_exception_fp_denorm_src 0
		.amdhsa_exception_fp_ieee_div_zero 0
		.amdhsa_exception_fp_ieee_overflow 0
		.amdhsa_exception_fp_ieee_underflow 0
		.amdhsa_exception_fp_ieee_inexact 0
		.amdhsa_exception_int_div_zero 0
	.end_amdhsa_kernel
	.text
.Lfunc_end36:
	.size	gemm_q5k_tiled_v2, .Lfunc_end36-gemm_q5k_tiled_v2
                                        ; -- End function
	.section	.AMDGPU.csdata,"",@progbits
; Kernel info:
; codeLenInByte = 13272
; NumSgprs: 42
; NumVgprs: 96
; ScratchSize: 0
; MemoryBound: 0
; FloatMode: 240
; IeeeMode: 1
; LDSByteSize: 16384 bytes/workgroup (compile time only)
; SGPRBlocks: 5
; VGPRBlocks: 11
; NumSGPRsForWavesPerEU: 42
; NumVGPRsForWavesPerEU: 96
; Occupancy: 16
; WaveLimiterHint : 0
; COMPUTE_PGM_RSRC2:SCRATCH_EN: 0
; COMPUTE_PGM_RSRC2:USER_SGPR: 14
; COMPUTE_PGM_RSRC2:TRAP_HANDLER: 0
; COMPUTE_PGM_RSRC2:TGID_X_EN: 1
; COMPUTE_PGM_RSRC2:TGID_Y_EN: 1
; COMPUTE_PGM_RSRC2:TGID_Z_EN: 0
; COMPUTE_PGM_RSRC2:TIDIG_COMP_CNT: 0
	.text
	.protected	sigmoid_mul             ; -- Begin function sigmoid_mul
	.globl	sigmoid_mul
	.p2align	8
	.type	sigmoid_mul,@function
sigmoid_mul:                            ; @sigmoid_mul
; %bb.0:
	s_clause 0x1
	s_load_b32 s2, s[0:1], 0x2c
	s_load_b32 s3, s[0:1], 0x18
	s_waitcnt lgkmcnt(0)
	s_and_b32 s2, s2, 0xffff
	s_delay_alu instid0(SALU_CYCLE_1) | instskip(SKIP_1) | instid1(VALU_DEP_1)
	v_mad_u64_u32 v[1:2], null, s15, s2, v[0:1]
	s_mov_b32 s2, exec_lo
	v_cmpx_gt_u32_e64 s3, v1
	s_cbranch_execz .LBB37_2
; %bb.1:
	s_load_b128 s[4:7], s[0:1], 0x0
	v_mov_b32_e32 v2, 0
	s_load_b64 s[0:1], s[0:1], 0x10
	s_delay_alu instid0(VALU_DEP_1) | instskip(SKIP_1) | instid1(VALU_DEP_1)
	v_lshlrev_b64 v[0:1], 2, v[1:2]
	s_waitcnt lgkmcnt(0)
	v_add_co_u32 v2, vcc_lo, s6, v0
	s_delay_alu instid0(VALU_DEP_2)
	v_add_co_ci_u32_e32 v3, vcc_lo, s7, v1, vcc_lo
	global_load_b32 v4, v[2:3], off
	v_add_co_u32 v2, vcc_lo, s4, v0
	v_add_co_ci_u32_e32 v3, vcc_lo, s5, v1, vcc_lo
	global_load_b32 v2, v[2:3], off
	s_waitcnt vmcnt(1)
	v_mul_f32_e32 v3, 0xbfb8aa3b, v4
	v_cmp_nlt_f32_e32 vcc_lo, 0x42ce8ed0, v4
	s_delay_alu instid0(VALU_DEP_2) | instskip(SKIP_1) | instid1(VALU_DEP_2)
	v_fma_f32 v5, 0xbfb8aa3b, v4, -v3
	v_rndne_f32_e32 v6, v3
	v_fmamk_f32 v5, v4, 0xb2a5705f, v5
	s_delay_alu instid0(VALU_DEP_2) | instskip(NEXT) | instid1(VALU_DEP_1)
	v_sub_f32_e32 v3, v3, v6
	v_add_f32_e32 v3, v3, v5
	v_cvt_i32_f32_e32 v5, v6
	s_delay_alu instid0(VALU_DEP_2) | instskip(SKIP_2) | instid1(VALU_DEP_1)
	v_exp_f32_e32 v3, v3
	s_waitcnt_depctr 0xfff
	v_ldexp_f32 v3, v3, v5
	v_cndmask_b32_e32 v3, 0, v3, vcc_lo
	v_cmp_ngt_f32_e32 vcc_lo, 0xc2b17218, v4
	s_delay_alu instid0(VALU_DEP_2) | instskip(NEXT) | instid1(VALU_DEP_1)
	v_cndmask_b32_e32 v3, 0x7f800000, v3, vcc_lo
	v_add_f32_e32 v3, 1.0, v3
	s_delay_alu instid0(VALU_DEP_1) | instskip(SKIP_1) | instid1(VALU_DEP_2)
	v_div_scale_f32 v4, null, v3, v3, 1.0
	v_div_scale_f32 v7, vcc_lo, 1.0, v3, 1.0
	v_rcp_f32_e32 v5, v4
	s_waitcnt_depctr 0xfff
	v_fma_f32 v6, -v4, v5, 1.0
	s_delay_alu instid0(VALU_DEP_1) | instskip(NEXT) | instid1(VALU_DEP_1)
	v_fmac_f32_e32 v5, v6, v5
	v_mul_f32_e32 v6, v7, v5
	s_delay_alu instid0(VALU_DEP_1) | instskip(NEXT) | instid1(VALU_DEP_1)
	v_fma_f32 v8, -v4, v6, v7
	v_fmac_f32_e32 v6, v8, v5
	s_delay_alu instid0(VALU_DEP_1) | instskip(NEXT) | instid1(VALU_DEP_1)
	v_fma_f32 v4, -v4, v6, v7
	v_div_fmas_f32 v4, v4, v5, v6
	v_add_co_u32 v0, vcc_lo, s0, v0
	v_add_co_ci_u32_e32 v1, vcc_lo, s1, v1, vcc_lo
	s_delay_alu instid0(VALU_DEP_3) | instskip(SKIP_1) | instid1(VALU_DEP_1)
	v_div_fixup_f32 v3, v4, v3, 1.0
	s_waitcnt vmcnt(0)
	v_mul_f32_e32 v2, v2, v3
	global_store_b32 v[0:1], v2, off
.LBB37_2:
	s_nop 0
	s_sendmsg sendmsg(MSG_DEALLOC_VGPRS)
	s_endpgm
	.section	.rodata,"a",@progbits
	.p2align	6, 0x0
	.amdhsa_kernel sigmoid_mul
		.amdhsa_group_segment_fixed_size 0
		.amdhsa_private_segment_fixed_size 0
		.amdhsa_kernarg_size 288
		.amdhsa_user_sgpr_count 15
		.amdhsa_user_sgpr_dispatch_ptr 0
		.amdhsa_user_sgpr_queue_ptr 0
		.amdhsa_user_sgpr_kernarg_segment_ptr 1
		.amdhsa_user_sgpr_dispatch_id 0
		.amdhsa_user_sgpr_private_segment_size 0
		.amdhsa_wavefront_size32 1
		.amdhsa_uses_dynamic_stack 0
		.amdhsa_enable_private_segment 0
		.amdhsa_system_sgpr_workgroup_id_x 1
		.amdhsa_system_sgpr_workgroup_id_y 0
		.amdhsa_system_sgpr_workgroup_id_z 0
		.amdhsa_system_sgpr_workgroup_info 0
		.amdhsa_system_vgpr_workitem_id 0
		.amdhsa_next_free_vgpr 9
		.amdhsa_next_free_sgpr 16
		.amdhsa_reserve_vcc 1
		.amdhsa_float_round_mode_32 0
		.amdhsa_float_round_mode_16_64 0
		.amdhsa_float_denorm_mode_32 3
		.amdhsa_float_denorm_mode_16_64 3
		.amdhsa_dx10_clamp 1
		.amdhsa_ieee_mode 1
		.amdhsa_fp16_overflow 0
		.amdhsa_workgroup_processor_mode 1
		.amdhsa_memory_ordered 1
		.amdhsa_forward_progress 0
		.amdhsa_shared_vgpr_count 0
		.amdhsa_exception_fp_ieee_invalid_op 0
		.amdhsa_exception_fp_denorm_src 0
		.amdhsa_exception_fp_ieee_div_zero 0
		.amdhsa_exception_fp_ieee_overflow 0
		.amdhsa_exception_fp_ieee_underflow 0
		.amdhsa_exception_fp_ieee_inexact 0
		.amdhsa_exception_int_div_zero 0
	.end_amdhsa_kernel
	.text
.Lfunc_end37:
	.size	sigmoid_mul, .Lfunc_end37-sigmoid_mul
                                        ; -- End function
	.section	.AMDGPU.csdata,"",@progbits
; Kernel info:
; codeLenInByte = 388
; NumSgprs: 18
; NumVgprs: 9
; ScratchSize: 0
; MemoryBound: 0
; FloatMode: 240
; IeeeMode: 1
; LDSByteSize: 0 bytes/workgroup (compile time only)
; SGPRBlocks: 2
; VGPRBlocks: 1
; NumSGPRsForWavesPerEU: 18
; NumVGPRsForWavesPerEU: 9
; Occupancy: 16
; WaveLimiterHint : 0
; COMPUTE_PGM_RSRC2:SCRATCH_EN: 0
; COMPUTE_PGM_RSRC2:USER_SGPR: 15
; COMPUTE_PGM_RSRC2:TRAP_HANDLER: 0
; COMPUTE_PGM_RSRC2:TGID_X_EN: 1
; COMPUTE_PGM_RSRC2:TGID_Y_EN: 0
; COMPUTE_PGM_RSRC2:TGID_Z_EN: 0
; COMPUTE_PGM_RSRC2:TIDIG_COMP_CNT: 0
	.text
	.protected	rms_norm_noweight       ; -- Begin function rms_norm_noweight
	.globl	rms_norm_noweight
	.p2align	8
	.type	rms_norm_noweight,@function
rms_norm_noweight:                      ; @rms_norm_noweight
; %bb.0:
	s_clause 0x1
	s_load_b64 s[8:9], s[0:1], 0x10
	s_load_b128 s[4:7], s[0:1], 0x0
	v_mov_b32_e32 v3, 0
	s_waitcnt lgkmcnt(0)
	s_mul_hi_u32 s11, s8, s15
	s_mul_i32 s10, s8, s15
	v_cmp_gt_u32_e64 s2, s8, v0
	s_lshl_b64 s[10:11], s[10:11], 2
	s_delay_alu instid0(SALU_CYCLE_1) | instskip(SKIP_1) | instid1(VALU_DEP_1)
	s_add_u32 s3, s4, s10
	s_addc_u32 s4, s5, s11
	s_and_saveexec_b32 s5, s2
	s_cbranch_execz .LBB38_4
; %bb.1:
	s_load_b32 s12, s[0:1], 0x24
	v_dual_mov_b32 v2, 0 :: v_dual_mov_b32 v3, 0
	v_mov_b32_e32 v1, v0
	s_waitcnt lgkmcnt(0)
	s_and_b32 s13, s12, 0xffff
	s_mov_b32 s12, 0
.LBB38_2:                               ; =>This Inner Loop Header: Depth=1
	s_delay_alu instid0(VALU_DEP_1) | instskip(SKIP_1) | instid1(VALU_DEP_2)
	v_lshlrev_b64 v[4:5], 2, v[1:2]
	v_add_nc_u32_e32 v1, s13, v1
	v_add_co_u32 v4, vcc_lo, s3, v4
	s_delay_alu instid0(VALU_DEP_3) | instskip(NEXT) | instid1(VALU_DEP_3)
	v_add_co_ci_u32_e32 v5, vcc_lo, s4, v5, vcc_lo
	v_cmp_le_u32_e32 vcc_lo, s8, v1
	global_load_b32 v4, v[4:5], off
	s_or_b32 s12, vcc_lo, s12
	s_waitcnt vmcnt(0)
	v_fmac_f32_e32 v3, v4, v4
	s_and_not1_b32 exec_lo, exec_lo, s12
	s_cbranch_execnz .LBB38_2
; %bb.3:
	s_or_b32 exec_lo, exec_lo, s12
.LBB38_4:
	s_delay_alu instid0(SALU_CYCLE_1) | instskip(SKIP_2) | instid1(VALU_DEP_1)
	s_or_b32 exec_lo, exec_lo, s5
	v_mbcnt_lo_u32_b32 v5, -1, 0
	s_mov_b32 s5, exec_lo
	v_cmp_gt_u32_e32 vcc_lo, 16, v5
	v_cndmask_b32_e64 v1, 0, 1, vcc_lo
	v_cmp_gt_u32_e32 vcc_lo, 24, v5
	s_delay_alu instid0(VALU_DEP_2) | instskip(SKIP_2) | instid1(VALU_DEP_3)
	v_lshlrev_b32_e32 v1, 4, v1
	v_cndmask_b32_e64 v2, 0, 1, vcc_lo
	v_cmp_gt_u32_e32 vcc_lo, 28, v5
	v_add_lshl_u32 v1, v1, v5, 2
	s_delay_alu instid0(VALU_DEP_3)
	v_lshlrev_b32_e32 v2, 3, v2
	ds_bpermute_b32 v4, v1, v3
	v_add_lshl_u32 v2, v2, v5, 2
	s_waitcnt lgkmcnt(0)
	v_add_f32_e32 v4, v3, v4
	v_cndmask_b32_e64 v3, 0, 1, vcc_lo
	v_cmp_gt_u32_e32 vcc_lo, 30, v5
	ds_bpermute_b32 v6, v2, v4
	s_waitcnt lgkmcnt(0)
	v_dual_add_f32 v6, v4, v6 :: v_dual_lshlrev_b32 v3, 2, v3
	s_delay_alu instid0(VALU_DEP_1) | instskip(SKIP_4) | instid1(VALU_DEP_1)
	v_add_lshl_u32 v3, v3, v5, 2
	v_cndmask_b32_e64 v4, 0, 1, vcc_lo
	v_cmp_ne_u32_e32 vcc_lo, 31, v5
	ds_bpermute_b32 v7, v3, v6
	v_lshlrev_b32_e32 v4, 1, v4
	v_add_lshl_u32 v4, v4, v5, 2
	v_add_co_ci_u32_e32 v5, vcc_lo, 0, v5, vcc_lo
	s_waitcnt lgkmcnt(0)
	s_delay_alu instid0(VALU_DEP_1)
	v_dual_add_f32 v6, v6, v7 :: v_dual_lshlrev_b32 v5, 2, v5
	ds_bpermute_b32 v7, v4, v6
	s_waitcnt lgkmcnt(0)
	v_dual_add_f32 v6, v6, v7 :: v_dual_and_b32 v7, 31, v0
	ds_bpermute_b32 v8, v5, v6
	v_cmpx_eq_u32_e32 0, v7
	s_cbranch_execz .LBB38_6
; %bb.5:
	s_waitcnt lgkmcnt(0)
	v_add_f32_e32 v6, v6, v8
	v_lshrrev_b32_e32 v8, 3, v0
	ds_store_b32 v8, v6
.LBB38_6:
	s_or_b32 exec_lo, exec_lo, s5
	s_waitcnt lgkmcnt(0)
	s_barrier
	buffer_gl0_inv
	s_load_b32 s0, s[0:1], 0x24
	v_mov_b32_e32 v6, 0
	s_waitcnt lgkmcnt(0)
	s_and_b32 s1, s0, 0xffff
	s_delay_alu instid0(SALU_CYCLE_1) | instskip(NEXT) | instid1(SALU_CYCLE_1)
	s_add_i32 s0, s1, 31
	s_lshr_b32 s0, s0, 5
	s_delay_alu instid0(SALU_CYCLE_1)
	v_cmp_gt_u32_e32 vcc_lo, s0, v0
	s_and_saveexec_b32 s0, vcc_lo
	s_cbranch_execz .LBB38_8
; %bb.7:
	v_lshlrev_b32_e32 v6, 2, v7
	ds_load_b32 v6, v6
.LBB38_8:
	s_or_b32 exec_lo, exec_lo, s0
	s_delay_alu instid0(SALU_CYCLE_1)
	s_mov_b32 s0, exec_lo
	v_cmpx_gt_u32_e32 32, v0
	s_cbranch_execz .LBB38_10
; %bb.9:
	s_waitcnt lgkmcnt(0)
	ds_bpermute_b32 v1, v1, v6
	s_waitcnt lgkmcnt(0)
	v_add_f32_e32 v1, v6, v1
	ds_bpermute_b32 v2, v2, v1
	s_waitcnt lgkmcnt(0)
	v_add_f32_e32 v1, v1, v2
	;; [unrolled: 3-line block ×5, first 2 shown]
.LBB38_10:
	s_or_b32 exec_lo, exec_lo, s0
	s_delay_alu instid0(SALU_CYCLE_1)
	s_mov_b32 s0, exec_lo
	v_cmpx_eq_u32_e32 0, v0
	s_cbranch_execz .LBB38_12
; %bb.11:
	v_cvt_f32_u32_e32 v1, s8
	s_waitcnt lgkmcnt(0)
	s_delay_alu instid0(VALU_DEP_1) | instskip(SKIP_1) | instid1(VALU_DEP_2)
	v_div_scale_f32 v2, null, v1, v1, v6
	v_div_scale_f32 v5, vcc_lo, v6, v1, v6
	v_rcp_f32_e32 v3, v2
	s_waitcnt_depctr 0xfff
	v_fma_f32 v4, -v2, v3, 1.0
	s_delay_alu instid0(VALU_DEP_1) | instskip(NEXT) | instid1(VALU_DEP_1)
	v_fmac_f32_e32 v3, v4, v3
	v_mul_f32_e32 v4, v5, v3
	s_delay_alu instid0(VALU_DEP_1) | instskip(NEXT) | instid1(VALU_DEP_1)
	v_fma_f32 v7, -v2, v4, v5
	v_fmac_f32_e32 v4, v7, v3
	s_delay_alu instid0(VALU_DEP_1) | instskip(NEXT) | instid1(VALU_DEP_1)
	v_fma_f32 v2, -v2, v4, v5
	v_div_fmas_f32 v2, v2, v3, v4
	s_delay_alu instid0(VALU_DEP_1) | instskip(NEXT) | instid1(VALU_DEP_1)
	v_div_fixup_f32 v1, v2, v1, v6
	v_add_f32_e32 v1, s9, v1
	s_delay_alu instid0(VALU_DEP_1) | instskip(SKIP_1) | instid1(VALU_DEP_2)
	v_mul_f32_e32 v2, 0x4b800000, v1
	v_cmp_gt_f32_e32 vcc_lo, 0x800000, v1
	v_cndmask_b32_e32 v1, v1, v2, vcc_lo
	s_delay_alu instid0(VALU_DEP_1) | instskip(SKIP_2) | instid1(VALU_DEP_1)
	v_rsq_f32_e32 v1, v1
	s_waitcnt_depctr 0xfff
	v_mul_f32_e32 v2, 0x45800000, v1
	v_dual_cndmask_b32 v1, v1, v2 :: v_dual_mov_b32 v2, 0
	ds_store_b32 v2, v1 offset:128
.LBB38_12:
	s_or_b32 exec_lo, exec_lo, s0
	s_waitcnt lgkmcnt(0)
	s_barrier
	buffer_gl0_inv
	s_and_saveexec_b32 s0, s2
	s_cbranch_execz .LBB38_15
; %bb.13:
	v_mov_b32_e32 v1, 0
	s_add_u32 s2, s6, s10
	s_addc_u32 s5, s7, s11
	s_mov_b32 s6, 0
	ds_load_b32 v2, v1 offset:128
	.p2align	6
.LBB38_14:                              ; =>This Inner Loop Header: Depth=1
	v_lshlrev_b64 v[3:4], 2, v[0:1]
	s_delay_alu instid0(VALU_DEP_1) | instskip(NEXT) | instid1(VALU_DEP_2)
	v_add_co_u32 v5, vcc_lo, s3, v3
	v_add_co_ci_u32_e32 v6, vcc_lo, s4, v4, vcc_lo
	v_add_co_u32 v3, s0, s2, v3
	s_delay_alu instid0(VALU_DEP_1) | instskip(SKIP_3) | instid1(VALU_DEP_1)
	v_add_co_ci_u32_e64 v4, s0, s5, v4, s0
	global_load_b32 v5, v[5:6], off
	s_waitcnt vmcnt(0) lgkmcnt(0)
	v_dual_mul_f32 v5, v2, v5 :: v_dual_add_nc_u32 v0, s1, v0
	v_cmp_le_u32_e32 vcc_lo, s8, v0
	global_store_b32 v[3:4], v5, off
	s_or_b32 s6, vcc_lo, s6
	s_delay_alu instid0(SALU_CYCLE_1)
	s_and_not1_b32 exec_lo, exec_lo, s6
	s_cbranch_execnz .LBB38_14
.LBB38_15:
	s_nop 0
	s_sendmsg sendmsg(MSG_DEALLOC_VGPRS)
	s_endpgm
	.section	.rodata,"a",@progbits
	.p2align	6, 0x0
	.amdhsa_kernel rms_norm_noweight
		.amdhsa_group_segment_fixed_size 132
		.amdhsa_private_segment_fixed_size 0
		.amdhsa_kernarg_size 280
		.amdhsa_user_sgpr_count 15
		.amdhsa_user_sgpr_dispatch_ptr 0
		.amdhsa_user_sgpr_queue_ptr 0
		.amdhsa_user_sgpr_kernarg_segment_ptr 1
		.amdhsa_user_sgpr_dispatch_id 0
		.amdhsa_user_sgpr_private_segment_size 0
		.amdhsa_wavefront_size32 1
		.amdhsa_uses_dynamic_stack 0
		.amdhsa_enable_private_segment 0
		.amdhsa_system_sgpr_workgroup_id_x 1
		.amdhsa_system_sgpr_workgroup_id_y 0
		.amdhsa_system_sgpr_workgroup_id_z 0
		.amdhsa_system_sgpr_workgroup_info 0
		.amdhsa_system_vgpr_workitem_id 0
		.amdhsa_next_free_vgpr 9
		.amdhsa_next_free_sgpr 16
		.amdhsa_reserve_vcc 1
		.amdhsa_float_round_mode_32 0
		.amdhsa_float_round_mode_16_64 0
		.amdhsa_float_denorm_mode_32 3
		.amdhsa_float_denorm_mode_16_64 3
		.amdhsa_dx10_clamp 1
		.amdhsa_ieee_mode 1
		.amdhsa_fp16_overflow 0
		.amdhsa_workgroup_processor_mode 1
		.amdhsa_memory_ordered 1
		.amdhsa_forward_progress 0
		.amdhsa_shared_vgpr_count 0
		.amdhsa_exception_fp_ieee_invalid_op 0
		.amdhsa_exception_fp_denorm_src 0
		.amdhsa_exception_fp_ieee_div_zero 0
		.amdhsa_exception_fp_ieee_overflow 0
		.amdhsa_exception_fp_ieee_underflow 0
		.amdhsa_exception_fp_ieee_inexact 0
		.amdhsa_exception_int_div_zero 0
	.end_amdhsa_kernel
	.text
.Lfunc_end38:
	.size	rms_norm_noweight, .Lfunc_end38-rms_norm_noweight
                                        ; -- End function
	.section	.AMDGPU.csdata,"",@progbits
; Kernel info:
; codeLenInByte = 952
; NumSgprs: 18
; NumVgprs: 9
; ScratchSize: 0
; MemoryBound: 0
; FloatMode: 240
; IeeeMode: 1
; LDSByteSize: 132 bytes/workgroup (compile time only)
; SGPRBlocks: 2
; VGPRBlocks: 1
; NumSGPRsForWavesPerEU: 18
; NumVGPRsForWavesPerEU: 9
; Occupancy: 16
; WaveLimiterHint : 0
; COMPUTE_PGM_RSRC2:SCRATCH_EN: 0
; COMPUTE_PGM_RSRC2:USER_SGPR: 15
; COMPUTE_PGM_RSRC2:TRAP_HANDLER: 0
; COMPUTE_PGM_RSRC2:TGID_X_EN: 1
; COMPUTE_PGM_RSRC2:TGID_Y_EN: 0
; COMPUTE_PGM_RSRC2:TGID_Z_EN: 0
; COMPUTE_PGM_RSRC2:TIDIG_COMP_CNT: 0
	.text
	.protected	rms_norm_kvwrite        ; -- Begin function rms_norm_kvwrite
	.globl	rms_norm_kvwrite
	.p2align	8
	.type	rms_norm_kvwrite,@function
rms_norm_kvwrite:                       ; @rms_norm_kvwrite
; %bb.0:
	s_load_b256 s[4:11], s[0:1], 0x0
	v_mov_b32_e32 v3, 0
	s_waitcnt lgkmcnt(0)
	s_mul_hi_u32 s13, s8, s15
	s_mul_i32 s12, s8, s15
	v_cmp_gt_u32_e64 s2, s8, v0
	s_lshl_b64 s[12:13], s[12:13], 2
	s_delay_alu instid0(SALU_CYCLE_1) | instskip(SKIP_1) | instid1(VALU_DEP_1)
	s_add_u32 s3, s4, s12
	s_addc_u32 s4, s5, s13
	s_and_saveexec_b32 s5, s2
	s_cbranch_execz .LBB39_4
; %bb.1:
	s_load_b32 s11, s[0:1], 0x2c
	v_dual_mov_b32 v2, 0 :: v_dual_mov_b32 v3, 0
	v_mov_b32_e32 v1, v0
	s_waitcnt lgkmcnt(0)
	s_and_b32 s14, s11, 0xffff
	s_mov_b32 s11, 0
.LBB39_2:                               ; =>This Inner Loop Header: Depth=1
	s_delay_alu instid0(VALU_DEP_1) | instskip(SKIP_1) | instid1(VALU_DEP_2)
	v_lshlrev_b64 v[4:5], 2, v[1:2]
	v_add_nc_u32_e32 v1, s14, v1
	v_add_co_u32 v4, vcc_lo, s3, v4
	s_delay_alu instid0(VALU_DEP_3) | instskip(NEXT) | instid1(VALU_DEP_3)
	v_add_co_ci_u32_e32 v5, vcc_lo, s4, v5, vcc_lo
	v_cmp_le_u32_e32 vcc_lo, s8, v1
	global_load_b32 v4, v[4:5], off
	s_or_b32 s11, vcc_lo, s11
	s_waitcnt vmcnt(0)
	v_fmac_f32_e32 v3, v4, v4
	s_and_not1_b32 exec_lo, exec_lo, s11
	s_cbranch_execnz .LBB39_2
; %bb.3:
	s_or_b32 exec_lo, exec_lo, s11
.LBB39_4:
	s_delay_alu instid0(SALU_CYCLE_1) | instskip(SKIP_2) | instid1(VALU_DEP_1)
	s_or_b32 exec_lo, exec_lo, s5
	v_mbcnt_lo_u32_b32 v5, -1, 0
	s_mov_b32 s5, exec_lo
	v_cmp_gt_u32_e32 vcc_lo, 16, v5
	v_cndmask_b32_e64 v1, 0, 1, vcc_lo
	v_cmp_gt_u32_e32 vcc_lo, 24, v5
	s_delay_alu instid0(VALU_DEP_2) | instskip(SKIP_2) | instid1(VALU_DEP_3)
	v_lshlrev_b32_e32 v1, 4, v1
	v_cndmask_b32_e64 v2, 0, 1, vcc_lo
	v_cmp_gt_u32_e32 vcc_lo, 28, v5
	v_add_lshl_u32 v1, v1, v5, 2
	s_delay_alu instid0(VALU_DEP_3)
	v_lshlrev_b32_e32 v2, 3, v2
	ds_bpermute_b32 v4, v1, v3
	v_add_lshl_u32 v2, v2, v5, 2
	s_waitcnt lgkmcnt(0)
	v_add_f32_e32 v4, v3, v4
	v_cndmask_b32_e64 v3, 0, 1, vcc_lo
	v_cmp_gt_u32_e32 vcc_lo, 30, v5
	ds_bpermute_b32 v6, v2, v4
	s_waitcnt lgkmcnt(0)
	v_dual_add_f32 v6, v4, v6 :: v_dual_lshlrev_b32 v3, 2, v3
	s_delay_alu instid0(VALU_DEP_1) | instskip(SKIP_4) | instid1(VALU_DEP_1)
	v_add_lshl_u32 v3, v3, v5, 2
	v_cndmask_b32_e64 v4, 0, 1, vcc_lo
	v_cmp_ne_u32_e32 vcc_lo, 31, v5
	ds_bpermute_b32 v7, v3, v6
	v_lshlrev_b32_e32 v4, 1, v4
	v_add_lshl_u32 v4, v4, v5, 2
	v_add_co_ci_u32_e32 v5, vcc_lo, 0, v5, vcc_lo
	s_waitcnt lgkmcnt(0)
	s_delay_alu instid0(VALU_DEP_1)
	v_dual_add_f32 v6, v6, v7 :: v_dual_lshlrev_b32 v5, 2, v5
	ds_bpermute_b32 v7, v4, v6
	s_waitcnt lgkmcnt(0)
	v_dual_add_f32 v6, v6, v7 :: v_dual_and_b32 v7, 31, v0
	ds_bpermute_b32 v8, v5, v6
	v_cmpx_eq_u32_e32 0, v7
	s_cbranch_execz .LBB39_6
; %bb.5:
	s_waitcnt lgkmcnt(0)
	v_add_f32_e32 v6, v6, v8
	v_lshrrev_b32_e32 v8, 3, v0
	ds_store_b32 v8, v6
.LBB39_6:
	s_or_b32 exec_lo, exec_lo, s5
	s_waitcnt lgkmcnt(0)
	s_barrier
	buffer_gl0_inv
	s_load_b32 s0, s[0:1], 0x2c
	v_mov_b32_e32 v6, 0
	s_waitcnt lgkmcnt(0)
	s_and_b32 s1, s0, 0xffff
	s_delay_alu instid0(SALU_CYCLE_1) | instskip(NEXT) | instid1(SALU_CYCLE_1)
	s_add_i32 s0, s1, 31
	s_lshr_b32 s0, s0, 5
	s_delay_alu instid0(SALU_CYCLE_1)
	v_cmp_gt_u32_e32 vcc_lo, s0, v0
	s_and_saveexec_b32 s0, vcc_lo
	s_cbranch_execz .LBB39_8
; %bb.7:
	v_lshlrev_b32_e32 v6, 2, v7
	ds_load_b32 v6, v6
.LBB39_8:
	s_or_b32 exec_lo, exec_lo, s0
	s_delay_alu instid0(SALU_CYCLE_1)
	s_mov_b32 s0, exec_lo
	v_cmpx_gt_u32_e32 32, v0
	s_cbranch_execz .LBB39_10
; %bb.9:
	s_waitcnt lgkmcnt(0)
	ds_bpermute_b32 v1, v1, v6
	s_waitcnt lgkmcnt(0)
	v_add_f32_e32 v1, v6, v1
	ds_bpermute_b32 v2, v2, v1
	s_waitcnt lgkmcnt(0)
	v_add_f32_e32 v1, v1, v2
	;; [unrolled: 3-line block ×5, first 2 shown]
.LBB39_10:
	s_or_b32 exec_lo, exec_lo, s0
	s_delay_alu instid0(SALU_CYCLE_1)
	s_mov_b32 s0, exec_lo
	v_cmpx_eq_u32_e32 0, v0
	s_cbranch_execz .LBB39_12
; %bb.11:
	v_cvt_f32_u32_e32 v1, s8
	s_waitcnt lgkmcnt(0)
	s_delay_alu instid0(VALU_DEP_1) | instskip(SKIP_1) | instid1(VALU_DEP_2)
	v_div_scale_f32 v2, null, v1, v1, v6
	v_div_scale_f32 v5, vcc_lo, v6, v1, v6
	v_rcp_f32_e32 v3, v2
	s_waitcnt_depctr 0xfff
	v_fma_f32 v4, -v2, v3, 1.0
	s_delay_alu instid0(VALU_DEP_1) | instskip(NEXT) | instid1(VALU_DEP_1)
	v_fmac_f32_e32 v3, v4, v3
	v_mul_f32_e32 v4, v5, v3
	s_delay_alu instid0(VALU_DEP_1) | instskip(NEXT) | instid1(VALU_DEP_1)
	v_fma_f32 v7, -v2, v4, v5
	v_fmac_f32_e32 v4, v7, v3
	s_delay_alu instid0(VALU_DEP_1) | instskip(NEXT) | instid1(VALU_DEP_1)
	v_fma_f32 v2, -v2, v4, v5
	v_div_fmas_f32 v2, v2, v3, v4
	s_delay_alu instid0(VALU_DEP_1) | instskip(NEXT) | instid1(VALU_DEP_1)
	v_div_fixup_f32 v1, v2, v1, v6
	v_add_f32_e32 v1, s9, v1
	s_delay_alu instid0(VALU_DEP_1) | instskip(SKIP_1) | instid1(VALU_DEP_2)
	v_mul_f32_e32 v2, 0x4b800000, v1
	v_cmp_gt_f32_e32 vcc_lo, 0x800000, v1
	v_cndmask_b32_e32 v1, v1, v2, vcc_lo
	s_delay_alu instid0(VALU_DEP_1) | instskip(SKIP_2) | instid1(VALU_DEP_1)
	v_rsq_f32_e32 v1, v1
	s_waitcnt_depctr 0xfff
	v_mul_f32_e32 v2, 0x45800000, v1
	v_dual_cndmask_b32 v1, v1, v2 :: v_dual_mov_b32 v2, 0
	ds_store_b32 v2, v1 offset:128
.LBB39_12:
	s_or_b32 exec_lo, exec_lo, s0
	s_waitcnt lgkmcnt(0)
	s_barrier
	buffer_gl0_inv
	s_and_saveexec_b32 s0, s2
	s_cbranch_execz .LBB39_15
; %bb.13:
	v_mov_b32_e32 v1, 0
	s_mov_b32 s11, 0
	s_add_u32 s0, s6, s12
	s_addc_u32 s5, s7, s13
	s_lshl_b64 s[6:7], s[10:11], 2
	ds_load_b32 v2, v1 offset:128
	s_add_u32 s2, s0, s6
	s_addc_u32 s5, s5, s7
	.p2align	6
.LBB39_14:                              ; =>This Inner Loop Header: Depth=1
	v_lshlrev_b64 v[3:4], 2, v[0:1]
	s_delay_alu instid0(VALU_DEP_1) | instskip(NEXT) | instid1(VALU_DEP_2)
	v_add_co_u32 v5, vcc_lo, s3, v3
	v_add_co_ci_u32_e32 v6, vcc_lo, s4, v4, vcc_lo
	v_add_co_u32 v3, s0, s2, v3
	s_delay_alu instid0(VALU_DEP_1) | instskip(SKIP_3) | instid1(VALU_DEP_1)
	v_add_co_ci_u32_e64 v4, s0, s5, v4, s0
	global_load_b32 v5, v[5:6], off
	s_waitcnt vmcnt(0) lgkmcnt(0)
	v_dual_mul_f32 v5, v2, v5 :: v_dual_add_nc_u32 v0, s1, v0
	v_cmp_le_u32_e32 vcc_lo, s8, v0
	global_store_b32 v[3:4], v5, off
	s_or_b32 s11, vcc_lo, s11
	s_delay_alu instid0(SALU_CYCLE_1)
	s_and_not1_b32 exec_lo, exec_lo, s11
	s_cbranch_execnz .LBB39_14
.LBB39_15:
	s_nop 0
	s_sendmsg sendmsg(MSG_DEALLOC_VGPRS)
	s_endpgm
	.section	.rodata,"a",@progbits
	.p2align	6, 0x0
	.amdhsa_kernel rms_norm_kvwrite
		.amdhsa_group_segment_fixed_size 132
		.amdhsa_private_segment_fixed_size 0
		.amdhsa_kernarg_size 288
		.amdhsa_user_sgpr_count 15
		.amdhsa_user_sgpr_dispatch_ptr 0
		.amdhsa_user_sgpr_queue_ptr 0
		.amdhsa_user_sgpr_kernarg_segment_ptr 1
		.amdhsa_user_sgpr_dispatch_id 0
		.amdhsa_user_sgpr_private_segment_size 0
		.amdhsa_wavefront_size32 1
		.amdhsa_uses_dynamic_stack 0
		.amdhsa_enable_private_segment 0
		.amdhsa_system_sgpr_workgroup_id_x 1
		.amdhsa_system_sgpr_workgroup_id_y 0
		.amdhsa_system_sgpr_workgroup_id_z 0
		.amdhsa_system_sgpr_workgroup_info 0
		.amdhsa_system_vgpr_workitem_id 0
		.amdhsa_next_free_vgpr 9
		.amdhsa_next_free_sgpr 16
		.amdhsa_reserve_vcc 1
		.amdhsa_float_round_mode_32 0
		.amdhsa_float_round_mode_16_64 0
		.amdhsa_float_denorm_mode_32 3
		.amdhsa_float_denorm_mode_16_64 3
		.amdhsa_dx10_clamp 1
		.amdhsa_ieee_mode 1
		.amdhsa_fp16_overflow 0
		.amdhsa_workgroup_processor_mode 1
		.amdhsa_memory_ordered 1
		.amdhsa_forward_progress 0
		.amdhsa_shared_vgpr_count 0
		.amdhsa_exception_fp_ieee_invalid_op 0
		.amdhsa_exception_fp_denorm_src 0
		.amdhsa_exception_fp_ieee_div_zero 0
		.amdhsa_exception_fp_ieee_overflow 0
		.amdhsa_exception_fp_ieee_underflow 0
		.amdhsa_exception_fp_ieee_inexact 0
		.amdhsa_exception_int_div_zero 0
	.end_amdhsa_kernel
	.text
.Lfunc_end39:
	.size	rms_norm_kvwrite, .Lfunc_end39-rms_norm_kvwrite
                                        ; -- End function
	.section	.AMDGPU.csdata,"",@progbits
; Kernel info:
; codeLenInByte = 952
; NumSgprs: 18
; NumVgprs: 9
; ScratchSize: 0
; MemoryBound: 0
; FloatMode: 240
; IeeeMode: 1
; LDSByteSize: 132 bytes/workgroup (compile time only)
; SGPRBlocks: 2
; VGPRBlocks: 1
; NumSGPRsForWavesPerEU: 18
; NumVGPRsForWavesPerEU: 9
; Occupancy: 16
; WaveLimiterHint : 0
; COMPUTE_PGM_RSRC2:SCRATCH_EN: 0
; COMPUTE_PGM_RSRC2:USER_SGPR: 15
; COMPUTE_PGM_RSRC2:TRAP_HANDLER: 0
; COMPUTE_PGM_RSRC2:TGID_X_EN: 1
; COMPUTE_PGM_RSRC2:TGID_Y_EN: 0
; COMPUTE_PGM_RSRC2:TGID_Z_EN: 0
; COMPUTE_PGM_RSRC2:TIDIG_COMP_CNT: 0
	.text
	.protected	geglu                   ; -- Begin function geglu
	.globl	geglu
	.p2align	8
	.type	geglu,@function
geglu:                                  ; @geglu
; %bb.0:
	s_clause 0x1
	s_load_b32 s2, s[0:1], 0x2c
	s_load_b32 s3, s[0:1], 0x18
	s_waitcnt lgkmcnt(0)
	s_and_b32 s2, s2, 0xffff
	s_delay_alu instid0(SALU_CYCLE_1) | instskip(SKIP_1) | instid1(VALU_DEP_1)
	v_mad_u64_u32 v[1:2], null, s15, s2, v[0:1]
	s_mov_b32 s2, exec_lo
	v_cmpx_gt_u32_e64 s3, v1
	s_cbranch_execz .LBB40_6
; %bb.1:
	s_load_b128 s[4:7], s[0:1], 0x0
	v_mov_b32_e32 v2, 0
	s_load_b64 s[0:1], s[0:1], 0x10
                                        ; implicit-def: $vgpr4
	s_delay_alu instid0(VALU_DEP_1) | instskip(SKIP_1) | instid1(VALU_DEP_1)
	v_lshlrev_b64 v[0:1], 2, v[1:2]
	s_waitcnt lgkmcnt(0)
	v_add_co_u32 v2, vcc_lo, s4, v0
	s_delay_alu instid0(VALU_DEP_2) | instskip(SKIP_3) | instid1(VALU_DEP_1)
	v_add_co_ci_u32_e32 v3, vcc_lo, s5, v1, vcc_lo
	global_load_b32 v2, v[2:3], off
	s_waitcnt vmcnt(0)
	v_mul_f32_e32 v3, 0x3d372713, v2
	v_mul_f32_e32 v3, v2, v3
	s_delay_alu instid0(VALU_DEP_1) | instskip(NEXT) | instid1(VALU_DEP_1)
	v_fma_f32 v3, v2, v3, v2
	v_mul_f32_e32 v3, 0x3f4c422a, v3
	s_delay_alu instid0(VALU_DEP_1) | instskip(NEXT) | instid1(VALU_DEP_1)
	v_cmp_ngt_f32_e64 s2, 0x3f200000, |v3|
	s_and_saveexec_b32 s3, s2
	s_delay_alu instid0(SALU_CYCLE_1)
	s_xor_b32 s2, exec_lo, s3
	s_cbranch_execz .LBB40_3
; %bb.2:
	v_add_f32_e64 v4, |v3|, |v3|
	s_delay_alu instid0(VALU_DEP_1) | instskip(SKIP_1) | instid1(VALU_DEP_2)
	v_mul_f32_e32 v5, 0x3fb8aa3b, v4
	v_cmp_ngt_f32_e32 vcc_lo, 0xc2ce8ed0, v4
	v_rndne_f32_e32 v6, v5
	v_fma_f32 v7, 0x3fb8aa3b, v4, -v5
	s_delay_alu instid0(VALU_DEP_2) | instskip(NEXT) | instid1(VALU_DEP_2)
	v_sub_f32_e32 v5, v5, v6
	v_fmamk_f32 v7, v4, 0x32a5705f, v7
	v_cvt_i32_f32_e32 v6, v6
	s_delay_alu instid0(VALU_DEP_2) | instskip(NEXT) | instid1(VALU_DEP_1)
	v_add_f32_e32 v5, v5, v7
	v_exp_f32_e32 v5, v5
	s_waitcnt_depctr 0xfff
	v_ldexp_f32 v5, v5, v6
	s_delay_alu instid0(VALU_DEP_1) | instskip(SKIP_1) | instid1(VALU_DEP_2)
	v_cndmask_b32_e32 v5, 0, v5, vcc_lo
	v_cmp_nlt_f32_e32 vcc_lo, 0x42b17218, v4
	v_cndmask_b32_e32 v4, 0x7f800000, v5, vcc_lo
	s_delay_alu instid0(VALU_DEP_1) | instskip(NEXT) | instid1(VALU_DEP_1)
	v_add_f32_e32 v4, 1.0, v4
	v_rcp_f32_e32 v4, v4
	s_waitcnt_depctr 0xfff
	v_fma_f32 v4, v4, -2.0, 1.0
.LBB40_3:
	s_and_not1_saveexec_b32 s2, s2
; %bb.4:
	v_mul_f32_e32 v4, v3, v3
	s_mov_b32 s3, 0xbbbac73d
	s_delay_alu instid0(VALU_DEP_1) | instid1(SALU_CYCLE_1)
	v_fmaak_f32 v5, s3, v4, 0x3ca908c9
	s_delay_alu instid0(VALU_DEP_1) | instskip(NEXT) | instid1(VALU_DEP_1)
	v_fmaak_f32 v5, v4, v5, 0xbd5c1c4e
	v_fmaak_f32 v5, v4, v5, 0x3e088382
	s_delay_alu instid0(VALU_DEP_1) | instskip(NEXT) | instid1(VALU_DEP_1)
	v_fmaak_f32 v5, v4, v5, 0xbeaaaa99
	v_mul_f32_e64 v5, |v3|, v5
	s_delay_alu instid0(VALU_DEP_1)
	v_fma_f32 v4, v4, v5, |v3|
; %bb.5:
	s_or_b32 exec_lo, exec_lo, s2
	v_add_co_u32 v5, vcc_lo, s6, v0
	v_add_co_ci_u32_e32 v6, vcc_lo, s7, v1, vcc_lo
	s_delay_alu instid0(VALU_DEP_3)
	v_bfi_b32 v3, 0x7fffffff, v4, v3
	v_mul_f32_e32 v2, 0.5, v2
	v_add_co_u32 v0, vcc_lo, s0, v0
	global_load_b32 v5, v[5:6], off
	v_add_f32_e32 v3, 1.0, v3
	v_add_co_ci_u32_e32 v1, vcc_lo, s1, v1, vcc_lo
	s_delay_alu instid0(VALU_DEP_2) | instskip(SKIP_1) | instid1(VALU_DEP_1)
	v_mul_f32_e32 v2, v2, v3
	s_waitcnt vmcnt(0)
	v_mul_f32_e32 v2, v5, v2
	global_store_b32 v[0:1], v2, off
.LBB40_6:
	s_nop 0
	s_sendmsg sendmsg(MSG_DEALLOC_VGPRS)
	s_endpgm
	.section	.rodata,"a",@progbits
	.p2align	6, 0x0
	.amdhsa_kernel geglu
		.amdhsa_group_segment_fixed_size 0
		.amdhsa_private_segment_fixed_size 0
		.amdhsa_kernarg_size 288
		.amdhsa_user_sgpr_count 15
		.amdhsa_user_sgpr_dispatch_ptr 0
		.amdhsa_user_sgpr_queue_ptr 0
		.amdhsa_user_sgpr_kernarg_segment_ptr 1
		.amdhsa_user_sgpr_dispatch_id 0
		.amdhsa_user_sgpr_private_segment_size 0
		.amdhsa_wavefront_size32 1
		.amdhsa_uses_dynamic_stack 0
		.amdhsa_enable_private_segment 0
		.amdhsa_system_sgpr_workgroup_id_x 1
		.amdhsa_system_sgpr_workgroup_id_y 0
		.amdhsa_system_sgpr_workgroup_id_z 0
		.amdhsa_system_sgpr_workgroup_info 0
		.amdhsa_system_vgpr_workitem_id 0
		.amdhsa_next_free_vgpr 8
		.amdhsa_next_free_sgpr 16
		.amdhsa_reserve_vcc 1
		.amdhsa_float_round_mode_32 0
		.amdhsa_float_round_mode_16_64 0
		.amdhsa_float_denorm_mode_32 3
		.amdhsa_float_denorm_mode_16_64 3
		.amdhsa_dx10_clamp 1
		.amdhsa_ieee_mode 1
		.amdhsa_fp16_overflow 0
		.amdhsa_workgroup_processor_mode 1
		.amdhsa_memory_ordered 1
		.amdhsa_forward_progress 0
		.amdhsa_shared_vgpr_count 0
		.amdhsa_exception_fp_ieee_invalid_op 0
		.amdhsa_exception_fp_denorm_src 0
		.amdhsa_exception_fp_ieee_div_zero 0
		.amdhsa_exception_fp_ieee_overflow 0
		.amdhsa_exception_fp_ieee_underflow 0
		.amdhsa_exception_fp_ieee_inexact 0
		.amdhsa_exception_int_div_zero 0
	.end_amdhsa_kernel
	.text
.Lfunc_end40:
	.size	geglu, .Lfunc_end40-geglu
                                        ; -- End function
	.section	.AMDGPU.csdata,"",@progbits
; Kernel info:
; codeLenInByte = 500
; NumSgprs: 18
; NumVgprs: 8
; ScratchSize: 0
; MemoryBound: 0
; FloatMode: 240
; IeeeMode: 1
; LDSByteSize: 0 bytes/workgroup (compile time only)
; SGPRBlocks: 2
; VGPRBlocks: 0
; NumSGPRsForWavesPerEU: 18
; NumVGPRsForWavesPerEU: 8
; Occupancy: 16
; WaveLimiterHint : 0
; COMPUTE_PGM_RSRC2:SCRATCH_EN: 0
; COMPUTE_PGM_RSRC2:USER_SGPR: 15
; COMPUTE_PGM_RSRC2:TRAP_HANDLER: 0
; COMPUTE_PGM_RSRC2:TGID_X_EN: 1
; COMPUTE_PGM_RSRC2:TGID_Y_EN: 0
; COMPUTE_PGM_RSRC2:TGID_Z_EN: 0
; COMPUTE_PGM_RSRC2:TIDIG_COMP_CNT: 0
	.text
	.protected	scalar_mul              ; -- Begin function scalar_mul
	.globl	scalar_mul
	.p2align	8
	.type	scalar_mul,@function
scalar_mul:                             ; @scalar_mul
; %bb.0:
	s_clause 0x1
	s_load_b32 s2, s[0:1], 0x24
	s_load_b32 s3, s[0:1], 0x10
	s_waitcnt lgkmcnt(0)
	s_and_b32 s2, s2, 0xffff
	s_delay_alu instid0(SALU_CYCLE_1) | instskip(SKIP_1) | instid1(VALU_DEP_1)
	v_mad_u64_u32 v[1:2], null, s15, s2, v[0:1]
	s_mov_b32 s2, exec_lo
	v_cmpx_gt_u32_e64 s3, v1
	s_cbranch_execz .LBB41_2
; %bb.1:
	s_load_b128 s[0:3], s[0:1], 0x0
	v_mov_b32_e32 v2, 0
	s_delay_alu instid0(VALU_DEP_1) | instskip(SKIP_1) | instid1(VALU_DEP_1)
	v_lshlrev_b64 v[0:1], 2, v[1:2]
	s_waitcnt lgkmcnt(0)
	v_add_co_u32 v0, vcc_lo, s0, v0
	s_delay_alu instid0(VALU_DEP_2)
	v_add_co_ci_u32_e32 v1, vcc_lo, s1, v1, vcc_lo
	s_load_b32 s0, s[2:3], 0x0
	global_load_b32 v2, v[0:1], off
	s_waitcnt vmcnt(0) lgkmcnt(0)
	v_mul_f32_e32 v2, s0, v2
	global_store_b32 v[0:1], v2, off
.LBB41_2:
	s_nop 0
	s_sendmsg sendmsg(MSG_DEALLOC_VGPRS)
	s_endpgm
	.section	.rodata,"a",@progbits
	.p2align	6, 0x0
	.amdhsa_kernel scalar_mul
		.amdhsa_group_segment_fixed_size 0
		.amdhsa_private_segment_fixed_size 0
		.amdhsa_kernarg_size 280
		.amdhsa_user_sgpr_count 15
		.amdhsa_user_sgpr_dispatch_ptr 0
		.amdhsa_user_sgpr_queue_ptr 0
		.amdhsa_user_sgpr_kernarg_segment_ptr 1
		.amdhsa_user_sgpr_dispatch_id 0
		.amdhsa_user_sgpr_private_segment_size 0
		.amdhsa_wavefront_size32 1
		.amdhsa_uses_dynamic_stack 0
		.amdhsa_enable_private_segment 0
		.amdhsa_system_sgpr_workgroup_id_x 1
		.amdhsa_system_sgpr_workgroup_id_y 0
		.amdhsa_system_sgpr_workgroup_id_z 0
		.amdhsa_system_sgpr_workgroup_info 0
		.amdhsa_system_vgpr_workitem_id 0
		.amdhsa_next_free_vgpr 3
		.amdhsa_next_free_sgpr 16
		.amdhsa_reserve_vcc 1
		.amdhsa_float_round_mode_32 0
		.amdhsa_float_round_mode_16_64 0
		.amdhsa_float_denorm_mode_32 3
		.amdhsa_float_denorm_mode_16_64 3
		.amdhsa_dx10_clamp 1
		.amdhsa_ieee_mode 1
		.amdhsa_fp16_overflow 0
		.amdhsa_workgroup_processor_mode 1
		.amdhsa_memory_ordered 1
		.amdhsa_forward_progress 0
		.amdhsa_shared_vgpr_count 0
		.amdhsa_exception_fp_ieee_invalid_op 0
		.amdhsa_exception_fp_denorm_src 0
		.amdhsa_exception_fp_ieee_div_zero 0
		.amdhsa_exception_fp_ieee_overflow 0
		.amdhsa_exception_fp_ieee_underflow 0
		.amdhsa_exception_fp_ieee_inexact 0
		.amdhsa_exception_int_div_zero 0
	.end_amdhsa_kernel
	.text
.Lfunc_end41:
	.size	scalar_mul, .Lfunc_end41-scalar_mul
                                        ; -- End function
	.section	.AMDGPU.csdata,"",@progbits
; Kernel info:
; codeLenInByte = 148
; NumSgprs: 18
; NumVgprs: 3
; ScratchSize: 0
; MemoryBound: 0
; FloatMode: 240
; IeeeMode: 1
; LDSByteSize: 0 bytes/workgroup (compile time only)
; SGPRBlocks: 2
; VGPRBlocks: 0
; NumSGPRsForWavesPerEU: 18
; NumVGPRsForWavesPerEU: 3
; Occupancy: 16
; WaveLimiterHint : 0
; COMPUTE_PGM_RSRC2:SCRATCH_EN: 0
; COMPUTE_PGM_RSRC2:USER_SGPR: 15
; COMPUTE_PGM_RSRC2:TRAP_HANDLER: 0
; COMPUTE_PGM_RSRC2:TGID_X_EN: 1
; COMPUTE_PGM_RSRC2:TGID_Y_EN: 0
; COMPUTE_PGM_RSRC2:TGID_Z_EN: 0
; COMPUTE_PGM_RSRC2:TIDIG_COMP_CNT: 0
	.text
	.protected	mul_vec_scaled          ; -- Begin function mul_vec_scaled
	.globl	mul_vec_scaled
	.p2align	8
	.type	mul_vec_scaled,@function
mul_vec_scaled:                         ; @mul_vec_scaled
; %bb.0:
	s_clause 0x1
	s_load_b32 s2, s[0:1], 0x24
	s_load_b32 s3, s[0:1], 0x10
	s_waitcnt lgkmcnt(0)
	s_and_b32 s2, s2, 0xffff
	s_delay_alu instid0(SALU_CYCLE_1) | instskip(SKIP_1) | instid1(VALU_DEP_1)
	v_mad_u64_u32 v[1:2], null, s15, s2, v[0:1]
	s_mov_b32 s2, exec_lo
	v_cmpx_gt_u32_e64 s3, v1
	s_cbranch_execz .LBB42_2
; %bb.1:
	s_load_b128 s[4:7], s[0:1], 0x0
	v_mov_b32_e32 v2, 0
	s_load_b32 s0, s[0:1], 0x14
	s_delay_alu instid0(VALU_DEP_1) | instskip(SKIP_1) | instid1(VALU_DEP_1)
	v_lshlrev_b64 v[0:1], 2, v[1:2]
	s_waitcnt lgkmcnt(0)
	v_add_co_u32 v2, vcc_lo, s4, v0
	s_delay_alu instid0(VALU_DEP_2)
	v_add_co_ci_u32_e32 v3, vcc_lo, s5, v1, vcc_lo
	v_add_co_u32 v0, vcc_lo, s6, v0
	v_add_co_ci_u32_e32 v1, vcc_lo, s7, v1, vcc_lo
	global_load_b32 v4, v[2:3], off
	global_load_b32 v0, v[0:1], off
	s_waitcnt vmcnt(0)
	v_mul_f32_e32 v0, v4, v0
	s_delay_alu instid0(VALU_DEP_1)
	v_mul_f32_e32 v0, s0, v0
	global_store_b32 v[2:3], v0, off
.LBB42_2:
	s_nop 0
	s_sendmsg sendmsg(MSG_DEALLOC_VGPRS)
	s_endpgm
	.section	.rodata,"a",@progbits
	.p2align	6, 0x0
	.amdhsa_kernel mul_vec_scaled
		.amdhsa_group_segment_fixed_size 0
		.amdhsa_private_segment_fixed_size 0
		.amdhsa_kernarg_size 280
		.amdhsa_user_sgpr_count 15
		.amdhsa_user_sgpr_dispatch_ptr 0
		.amdhsa_user_sgpr_queue_ptr 0
		.amdhsa_user_sgpr_kernarg_segment_ptr 1
		.amdhsa_user_sgpr_dispatch_id 0
		.amdhsa_user_sgpr_private_segment_size 0
		.amdhsa_wavefront_size32 1
		.amdhsa_uses_dynamic_stack 0
		.amdhsa_enable_private_segment 0
		.amdhsa_system_sgpr_workgroup_id_x 1
		.amdhsa_system_sgpr_workgroup_id_y 0
		.amdhsa_system_sgpr_workgroup_id_z 0
		.amdhsa_system_sgpr_workgroup_info 0
		.amdhsa_system_vgpr_workitem_id 0
		.amdhsa_next_free_vgpr 5
		.amdhsa_next_free_sgpr 16
		.amdhsa_reserve_vcc 1
		.amdhsa_float_round_mode_32 0
		.amdhsa_float_round_mode_16_64 0
		.amdhsa_float_denorm_mode_32 3
		.amdhsa_float_denorm_mode_16_64 3
		.amdhsa_dx10_clamp 1
		.amdhsa_ieee_mode 1
		.amdhsa_fp16_overflow 0
		.amdhsa_workgroup_processor_mode 1
		.amdhsa_memory_ordered 1
		.amdhsa_forward_progress 0
		.amdhsa_shared_vgpr_count 0
		.amdhsa_exception_fp_ieee_invalid_op 0
		.amdhsa_exception_fp_denorm_src 0
		.amdhsa_exception_fp_ieee_div_zero 0
		.amdhsa_exception_fp_ieee_overflow 0
		.amdhsa_exception_fp_ieee_underflow 0
		.amdhsa_exception_fp_ieee_inexact 0
		.amdhsa_exception_int_div_zero 0
	.end_amdhsa_kernel
	.text
.Lfunc_end42:
	.size	mul_vec_scaled, .Lfunc_end42-mul_vec_scaled
                                        ; -- End function
	.section	.AMDGPU.csdata,"",@progbits
; Kernel info:
; codeLenInByte = 176
; NumSgprs: 18
; NumVgprs: 5
; ScratchSize: 0
; MemoryBound: 0
; FloatMode: 240
; IeeeMode: 1
; LDSByteSize: 0 bytes/workgroup (compile time only)
; SGPRBlocks: 2
; VGPRBlocks: 0
; NumSGPRsForWavesPerEU: 18
; NumVGPRsForWavesPerEU: 5
; Occupancy: 16
; WaveLimiterHint : 0
; COMPUTE_PGM_RSRC2:SCRATCH_EN: 0
; COMPUTE_PGM_RSRC2:USER_SGPR: 15
; COMPUTE_PGM_RSRC2:TRAP_HANDLER: 0
; COMPUTE_PGM_RSRC2:TGID_X_EN: 1
; COMPUTE_PGM_RSRC2:TGID_Y_EN: 0
; COMPUTE_PGM_RSRC2:TGID_Z_EN: 0
; COMPUTE_PGM_RSRC2:TIDIG_COMP_CNT: 0
	.text
	.protected	zero_vec                ; -- Begin function zero_vec
	.globl	zero_vec
	.p2align	8
	.type	zero_vec,@function
zero_vec:                               ; @zero_vec
; %bb.0:
	s_clause 0x1
	s_load_b32 s2, s[0:1], 0x1c
	s_load_b32 s3, s[0:1], 0x8
	s_waitcnt lgkmcnt(0)
	s_and_b32 s2, s2, 0xffff
	s_delay_alu instid0(SALU_CYCLE_1) | instskip(SKIP_1) | instid1(VALU_DEP_1)
	v_mad_u64_u32 v[1:2], null, s15, s2, v[0:1]
	s_mov_b32 s2, exec_lo
	v_cmpx_gt_u32_e64 s3, v1
	s_cbranch_execz .LBB43_2
; %bb.1:
	s_load_b64 s[0:1], s[0:1], 0x0
	v_mov_b32_e32 v2, 0
	s_delay_alu instid0(VALU_DEP_1) | instskip(SKIP_1) | instid1(VALU_DEP_1)
	v_lshlrev_b64 v[0:1], 2, v[1:2]
	s_waitcnt lgkmcnt(0)
	v_add_co_u32 v0, vcc_lo, s0, v0
	s_delay_alu instid0(VALU_DEP_2)
	v_add_co_ci_u32_e32 v1, vcc_lo, s1, v1, vcc_lo
	global_store_b32 v[0:1], v2, off
.LBB43_2:
	s_nop 0
	s_sendmsg sendmsg(MSG_DEALLOC_VGPRS)
	s_endpgm
	.section	.rodata,"a",@progbits
	.p2align	6, 0x0
	.amdhsa_kernel zero_vec
		.amdhsa_group_segment_fixed_size 0
		.amdhsa_private_segment_fixed_size 0
		.amdhsa_kernarg_size 272
		.amdhsa_user_sgpr_count 15
		.amdhsa_user_sgpr_dispatch_ptr 0
		.amdhsa_user_sgpr_queue_ptr 0
		.amdhsa_user_sgpr_kernarg_segment_ptr 1
		.amdhsa_user_sgpr_dispatch_id 0
		.amdhsa_user_sgpr_private_segment_size 0
		.amdhsa_wavefront_size32 1
		.amdhsa_uses_dynamic_stack 0
		.amdhsa_enable_private_segment 0
		.amdhsa_system_sgpr_workgroup_id_x 1
		.amdhsa_system_sgpr_workgroup_id_y 0
		.amdhsa_system_sgpr_workgroup_id_z 0
		.amdhsa_system_sgpr_workgroup_info 0
		.amdhsa_system_vgpr_workitem_id 0
		.amdhsa_next_free_vgpr 3
		.amdhsa_next_free_sgpr 16
		.amdhsa_reserve_vcc 1
		.amdhsa_float_round_mode_32 0
		.amdhsa_float_round_mode_16_64 0
		.amdhsa_float_denorm_mode_32 3
		.amdhsa_float_denorm_mode_16_64 3
		.amdhsa_dx10_clamp 1
		.amdhsa_ieee_mode 1
		.amdhsa_fp16_overflow 0
		.amdhsa_workgroup_processor_mode 1
		.amdhsa_memory_ordered 1
		.amdhsa_forward_progress 0
		.amdhsa_shared_vgpr_count 0
		.amdhsa_exception_fp_ieee_invalid_op 0
		.amdhsa_exception_fp_denorm_src 0
		.amdhsa_exception_fp_ieee_div_zero 0
		.amdhsa_exception_fp_ieee_overflow 0
		.amdhsa_exception_fp_ieee_underflow 0
		.amdhsa_exception_fp_ieee_inexact 0
		.amdhsa_exception_int_div_zero 0
	.end_amdhsa_kernel
	.text
.Lfunc_end43:
	.size	zero_vec, .Lfunc_end43-zero_vec
                                        ; -- End function
	.section	.AMDGPU.csdata,"",@progbits
; Kernel info:
; codeLenInByte = 124
; NumSgprs: 18
; NumVgprs: 3
; ScratchSize: 0
; MemoryBound: 0
; FloatMode: 240
; IeeeMode: 1
; LDSByteSize: 0 bytes/workgroup (compile time only)
; SGPRBlocks: 2
; VGPRBlocks: 0
; NumSGPRsForWavesPerEU: 18
; NumVGPRsForWavesPerEU: 3
; Occupancy: 16
; WaveLimiterHint : 0
; COMPUTE_PGM_RSRC2:SCRATCH_EN: 0
; COMPUTE_PGM_RSRC2:USER_SGPR: 15
; COMPUTE_PGM_RSRC2:TRAP_HANDLER: 0
; COMPUTE_PGM_RSRC2:TGID_X_EN: 1
; COMPUTE_PGM_RSRC2:TGID_Y_EN: 0
; COMPUTE_PGM_RSRC2:TGID_Z_EN: 0
; COMPUTE_PGM_RSRC2:TIDIG_COMP_CNT: 0
	.text
	.protected	gemma_attention         ; -- Begin function gemma_attention
	.globl	gemma_attention
	.p2align	8
	.type	gemma_attention,@function
gemma_attention:                        ; @gemma_attention
; %bb.0:
	s_clause 0x1
	s_load_b128 s[16:19], s[0:1], 0x20
	s_load_b64 s[2:3], s[0:1], 0x30
	s_waitcnt lgkmcnt(0)
	v_cvt_f32_u32_e32 v1, s18
	s_sub_i32 s5, 0, s18
	s_delay_alu instid0(VALU_DEP_1) | instskip(SKIP_2) | instid1(VALU_DEP_1)
	v_rcp_iflag_f32_e32 v1, v1
	s_waitcnt_depctr 0xfff
	v_mul_f32_e32 v1, 0x4f7ffffe, v1
	v_cvt_u32_f32_e32 v1, v1
	s_delay_alu instid0(VALU_DEP_1) | instskip(NEXT) | instid1(VALU_DEP_1)
	v_readfirstlane_b32 s4, v1
	s_mul_i32 s5, s5, s4
	s_delay_alu instid0(SALU_CYCLE_1) | instskip(NEXT) | instid1(SALU_CYCLE_1)
	s_mul_hi_u32 s5, s4, s5
	s_add_i32 s4, s4, s5
	s_delay_alu instid0(SALU_CYCLE_1) | instskip(NEXT) | instid1(SALU_CYCLE_1)
	s_mul_hi_u32 s4, s17, s4
	s_mul_i32 s5, s4, s18
	s_add_i32 s6, s4, 1
	s_sub_i32 s5, s17, s5
	s_delay_alu instid0(SALU_CYCLE_1)
	s_sub_i32 s7, s5, s18
	s_cmp_ge_u32 s5, s18
	s_cselect_b32 s4, s6, s4
	s_cselect_b32 s5, s7, s5
	s_add_i32 s6, s4, 1
	s_cmp_ge_u32 s5, s18
	s_cselect_b32 s4, s6, s4
	s_delay_alu instid0(SALU_CYCLE_1) | instskip(SKIP_1) | instid1(VALU_DEP_1)
	v_cvt_f32_u32_e32 v1, s4
	s_sub_i32 s6, 0, s4
	v_rcp_iflag_f32_e32 v1, v1
	s_waitcnt_depctr 0xfff
	v_mul_f32_e32 v1, 0x4f7ffffe, v1
	s_delay_alu instid0(VALU_DEP_1) | instskip(NEXT) | instid1(VALU_DEP_1)
	v_cvt_u32_f32_e32 v1, v1
	v_readfirstlane_b32 s5, v1
	s_delay_alu instid0(VALU_DEP_1) | instskip(NEXT) | instid1(SALU_CYCLE_1)
	s_mul_i32 s6, s6, s5
	s_mul_hi_u32 s7, s5, s6
	s_mov_b32 s6, 0
	s_add_i32 s5, s5, s7
	s_cmp_eq_u32 s2, 0
	s_mul_hi_u32 s5, s15, s5
	s_cbranch_scc1 .LBB44_38
; %bb.1:
	v_mov_b32_e32 v4, s2
	s_and_not1_b32 vcc_lo, exec_lo, s6
	s_cbranch_vccnz .LBB44_3
.LBB44_2:
	v_cvt_f32_u32_e32 v1, s16
	s_cmp_eq_u32 s16, 0
	s_cselect_b32 vcc_lo, -1, 0
	s_delay_alu instid0(VALU_DEP_1) | instskip(SKIP_2) | instid1(VALU_DEP_1)
	v_rsq_f32_e32 v1, v1
	s_waitcnt_depctr 0xfff
	v_mul_f32_e32 v2, 0x45800000, v1
	v_cndmask_b32_e32 v4, v1, v2, vcc_lo
.LBB44_3:
	s_mul_i32 s2, s5, s4
	s_add_i32 s6, s5, 1
	s_sub_i32 s2, s15, s2
	v_mov_b32_e32 v5, 0xff7fc99e
	s_sub_i32 s7, s2, s4
	s_cmp_ge_u32 s2, s4
	s_mov_b32 s17, 0
	s_cselect_b32 s5, s6, s5
	s_cselect_b32 s2, s7, s2
	s_add_i32 s6, s5, 1
	s_cmp_ge_u32 s2, s4
	s_mul_hi_u32 s21, s16, s15
	s_cselect_b32 s12, s6, s5
	s_cmp_lg_u32 s3, 0
	s_load_b256 s[4:11], s[0:1], 0x0
	s_cselect_b32 s2, -1, 0
	s_cmp_gt_u32 s19, s3
	s_mul_i32 s20, s16, s15
	s_cselect_b32 s13, -1, 0
	s_sub_i32 s3, s19, s3
	s_and_b32 s2, s2, s13
	s_delay_alu instid0(SALU_CYCLE_1) | instskip(SKIP_1) | instid1(SALU_CYCLE_1)
	s_and_b32 s2, s2, exec_lo
	s_cselect_b32 s24, s3, 0
	v_add_nc_u32_e32 v3, s24, v0
	s_delay_alu instid0(VALU_DEP_1) | instskip(NEXT) | instid1(VALU_DEP_1)
	v_cmp_gt_u32_e64 s2, s19, v3
	s_and_saveexec_b32 s3, s2
	s_cbranch_execz .LBB44_11
; %bb.4:
	s_load_b32 s22, s[0:1], 0x44
	s_lshl_b64 s[14:15], s[20:21], 2
	v_dual_mov_b32 v5, 0xff7fc99e :: v_dual_mov_b32 v6, v3
	s_waitcnt lgkmcnt(0)
	s_add_u32 s4, s4, s14
	s_addc_u32 s5, s5, s15
	s_cmp_lg_u32 s16, 0
	s_mov_b32 s13, s17
	s_cselect_b32 s25, -1, 0
	s_lshl_b64 s[14:15], s[16:17], 2
	s_and_b32 s26, s22, 0xffff
	s_set_inst_prefetch_distance 0x1
	s_branch .LBB44_7
	.p2align	6
.LBB44_5:                               ;   in Loop: Header=BB44_7 Depth=1
	v_mov_b32_e32 v7, 0
.LBB44_6:                               ;   in Loop: Header=BB44_7 Depth=1
	v_lshl_add_u32 v1, v6, 2, 0x108
	v_dual_max_f32 v5, v5, v5 :: v_dual_add_nc_u32 v6, s26, v6
	s_delay_alu instid0(VALU_DEP_3) | instskip(NEXT) | instid1(VALU_DEP_2)
	v_mul_f32_e32 v2, v4, v7
	v_cmp_le_u32_e32 vcc_lo, s19, v6
	s_delay_alu instid0(VALU_DEP_2) | instskip(SKIP_2) | instid1(SALU_CYCLE_1)
	v_max_f32_e32 v5, v5, v2
	ds_store_b32 v1, v2
	s_or_b32 s17, vcc_lo, s17
	s_and_not1_b32 exec_lo, exec_lo, s17
	s_cbranch_execz .LBB44_10
.LBB44_7:                               ; =>This Loop Header: Depth=1
                                        ;     Child Loop BB44_9 Depth 2
	s_and_not1_b32 vcc_lo, exec_lo, s25
	s_cbranch_vccnz .LBB44_5
; %bb.8:                                ;   in Loop: Header=BB44_7 Depth=1
	v_mad_u64_u32 v[7:8], null, s18, v6, s[12:13]
	s_mov_b64 s[22:23], s[4:5]
	s_mov_b32 s27, s16
	s_delay_alu instid0(VALU_DEP_1) | instskip(NEXT) | instid1(VALU_DEP_2)
	v_mul_lo_u32 v8, s14, v8
	v_mul_lo_u32 v9, s15, v7
	v_mad_u64_u32 v[1:2], null, s14, v7, s[6:7]
	v_mov_b32_e32 v7, 0
	s_delay_alu instid0(VALU_DEP_2)
	v_add3_u32 v2, v9, v2, v8
.LBB44_9:                               ;   Parent Loop BB44_7 Depth=1
                                        ; =>  This Inner Loop Header: Depth=2
	global_load_b32 v8, v[1:2], off
	s_load_b32 s28, s[22:23], 0x0
	v_add_co_u32 v1, vcc_lo, v1, 4
	s_add_i32 s27, s27, -1
	v_add_co_ci_u32_e32 v2, vcc_lo, 0, v2, vcc_lo
	s_add_u32 s22, s22, 4
	s_addc_u32 s23, s23, 0
	s_cmp_eq_u32 s27, 0
	s_waitcnt vmcnt(0) lgkmcnt(0)
	v_fmac_f32_e32 v7, s28, v8
	s_cbranch_scc0 .LBB44_9
	s_branch .LBB44_6
.LBB44_10:
	s_set_inst_prefetch_distance 0x2
	s_or_b32 exec_lo, exec_lo, s17
.LBB44_11:
	s_delay_alu instid0(SALU_CYCLE_1) | instskip(SKIP_1) | instid1(VALU_DEP_1)
	s_or_b32 exec_lo, exec_lo, s3
	v_mbcnt_lo_u32_b32 v6, -1, 0
	v_cmp_gt_u32_e32 vcc_lo, 16, v6
	v_cndmask_b32_e64 v1, 0, 1, vcc_lo
	v_cmp_gt_u32_e32 vcc_lo, 24, v6
	s_delay_alu instid0(VALU_DEP_2) | instskip(SKIP_2) | instid1(VALU_DEP_3)
	v_lshlrev_b32_e32 v1, 4, v1
	v_cndmask_b32_e64 v4, 0, 1, vcc_lo
	v_cmp_gt_u32_e32 vcc_lo, 28, v6
	v_add_lshl_u32 v1, v1, v6, 2
	s_delay_alu instid0(VALU_DEP_3)
	v_lshlrev_b32_e32 v4, 3, v4
	ds_bpermute_b32 v2, v1, v5
	v_max_f32_e32 v5, v5, v5
	s_waitcnt lgkmcnt(0)
	v_max_f32_e32 v7, v2, v2
	v_add_lshl_u32 v2, v4, v6, 2
	s_delay_alu instid0(VALU_DEP_2)
	v_max_f32_e32 v5, v5, v7
	v_cndmask_b32_e64 v7, 0, 1, vcc_lo
	v_cmp_gt_u32_e32 vcc_lo, 30, v6
	ds_bpermute_b32 v4, v2, v5
	s_waitcnt lgkmcnt(0)
	v_dual_max_f32 v8, v4, v4 :: v_dual_lshlrev_b32 v7, 2, v7
	s_delay_alu instid0(VALU_DEP_1) | instskip(NEXT) | instid1(VALU_DEP_2)
	v_add_lshl_u32 v4, v7, v6, 2
	v_max_f32_e32 v7, v5, v8
	v_cndmask_b32_e64 v8, 0, 1, vcc_lo
	v_cmp_ne_u32_e32 vcc_lo, 31, v6
	ds_bpermute_b32 v5, v4, v7
	s_waitcnt lgkmcnt(0)
	v_dual_max_f32 v9, v5, v5 :: v_dual_lshlrev_b32 v8, 1, v8
	s_delay_alu instid0(VALU_DEP_1) | instskip(SKIP_1) | instid1(VALU_DEP_1)
	v_add_lshl_u32 v5, v8, v6, 2
	v_add_co_ci_u32_e32 v6, vcc_lo, 0, v6, vcc_lo
	v_dual_max_f32 v7, v7, v9 :: v_dual_lshlrev_b32 v6, 2, v6
	ds_bpermute_b32 v8, v5, v7
	s_waitcnt lgkmcnt(0)
	v_max_f32_e32 v8, v8, v8
	s_delay_alu instid0(VALU_DEP_1)
	v_max_f32_e32 v8, v7, v8
	v_and_b32_e32 v7, 31, v0
	ds_bpermute_b32 v9, v6, v8
	v_cmp_eq_u32_e32 vcc_lo, 0, v7
	s_and_saveexec_b32 s3, vcc_lo
	s_cbranch_execz .LBB44_13
; %bb.12:
	s_waitcnt lgkmcnt(0)
	v_dual_max_f32 v9, v9, v9 :: v_dual_max_f32 v8, v8, v8
	s_delay_alu instid0(VALU_DEP_1)
	v_max_f32_e32 v8, v8, v9
	v_lshrrev_b32_e32 v9, 3, v0
	ds_store_b32 v9, v8
.LBB44_13:
	s_or_b32 exec_lo, exec_lo, s3
	s_waitcnt lgkmcnt(0)
	s_barrier
	buffer_gl0_inv
	s_load_b32 s0, s[0:1], 0x44
	v_mov_b32_e32 v8, 0xff7fc99e
	s_waitcnt lgkmcnt(0)
	s_and_b32 s4, s0, 0xffff
	s_delay_alu instid0(SALU_CYCLE_1) | instskip(NEXT) | instid1(SALU_CYCLE_1)
	s_add_i32 s0, s4, 31
	s_lshr_b32 s0, s0, 5
	s_delay_alu instid0(SALU_CYCLE_1) | instskip(NEXT) | instid1(VALU_DEP_1)
	v_cmp_gt_u32_e64 s0, s0, v0
	s_and_saveexec_b32 s1, s0
	s_cbranch_execnz .LBB44_34
; %bb.14:
	s_or_b32 exec_lo, exec_lo, s1
	v_cmp_gt_u32_e64 s1, 32, v0
	s_delay_alu instid0(VALU_DEP_1)
	s_and_saveexec_b32 s3, s1
	s_cbranch_execnz .LBB44_35
.LBB44_15:
	s_or_b32 exec_lo, exec_lo, s3
	v_cmp_eq_u32_e64 s3, 0, v0
	s_delay_alu instid0(VALU_DEP_1)
	s_and_saveexec_b32 s5, s3
	s_cbranch_execz .LBB44_17
.LBB44_16:
	v_mov_b32_e32 v9, 0
	s_waitcnt lgkmcnt(0)
	ds_store_b32 v9, v8 offset:256
.LBB44_17:
	s_or_b32 exec_lo, exec_lo, s5
	s_waitcnt lgkmcnt(0)
	v_mov_b32_e32 v8, 0
	s_barrier
	buffer_gl0_inv
	s_and_saveexec_b32 s5, s2
	s_cbranch_execz .LBB44_21
; %bb.18:
	v_mov_b32_e32 v8, 0
	v_lshl_add_u32 v10, v3, 2, 0x108
	s_lshl_b32 s7, s4, 2
	s_mov_b32 s6, 0
	ds_load_b32 v9, v8 offset:256
	s_set_inst_prefetch_distance 0x1
	.p2align	6
.LBB44_19:                              ; =>This Inner Loop Header: Depth=1
	ds_load_b32 v11, v10
	v_add_nc_u32_e32 v3, s4, v3
	s_waitcnt lgkmcnt(0)
	v_sub_f32_e32 v11, v11, v9
	s_delay_alu instid0(VALU_DEP_1) | instskip(NEXT) | instid1(VALU_DEP_1)
	v_mul_f32_e32 v12, 0x3fb8aa3b, v11
	v_fma_f32 v13, 0x3fb8aa3b, v11, -v12
	v_rndne_f32_e32 v14, v12
	s_delay_alu instid0(VALU_DEP_1) | instskip(SKIP_1) | instid1(VALU_DEP_2)
	v_dual_sub_f32 v12, v12, v14 :: v_dual_fmac_f32 v13, 0x32a5705f, v11
	v_cmp_ngt_f32_e64 s2, 0xc2ce8ed0, v11
	v_add_f32_e32 v12, v12, v13
	v_cvt_i32_f32_e32 v13, v14
	s_delay_alu instid0(VALU_DEP_2) | instskip(SKIP_2) | instid1(VALU_DEP_1)
	v_exp_f32_e32 v12, v12
	s_waitcnt_depctr 0xfff
	v_ldexp_f32 v12, v12, v13
	v_cndmask_b32_e64 v12, 0, v12, s2
	v_cmp_nlt_f32_e64 s2, 0x42b17218, v11
	s_delay_alu instid0(VALU_DEP_1)
	v_cndmask_b32_e64 v11, 0x7f800000, v12, s2
	v_cmp_le_u32_e64 s2, s19, v3
	ds_store_b32 v10, v11
	v_add_f32_e32 v8, v8, v11
	v_add_nc_u32_e32 v10, s7, v10
	s_or_b32 s6, s2, s6
	s_delay_alu instid0(SALU_CYCLE_1)
	s_and_not1_b32 exec_lo, exec_lo, s6
	s_cbranch_execnz .LBB44_19
; %bb.20:
	s_set_inst_prefetch_distance 0x2
	s_or_b32 exec_lo, exec_lo, s6
.LBB44_21:
	s_delay_alu instid0(SALU_CYCLE_1)
	s_or_b32 exec_lo, exec_lo, s5
	ds_bpermute_b32 v3, v1, v8
	s_waitcnt lgkmcnt(0)
	v_add_f32_e32 v3, v8, v3
	ds_bpermute_b32 v8, v2, v3
	s_waitcnt lgkmcnt(0)
	v_add_f32_e32 v3, v3, v8
	;; [unrolled: 3-line block ×4, first 2 shown]
	ds_bpermute_b32 v8, v6, v3
	s_and_saveexec_b32 s2, vcc_lo
	s_cbranch_execz .LBB44_23
; %bb.22:
	s_waitcnt lgkmcnt(0)
	v_add_f32_e32 v3, v3, v8
	v_lshrrev_b32_e32 v8, 3, v0
	ds_store_b32 v8, v3 offset:128
.LBB44_23:
	s_or_b32 exec_lo, exec_lo, s2
	v_mov_b32_e32 v3, 0
	s_waitcnt lgkmcnt(0)
	s_barrier
	buffer_gl0_inv
	s_and_saveexec_b32 s2, s0
	s_cbranch_execnz .LBB44_36
; %bb.24:
	s_or_b32 exec_lo, exec_lo, s2
	s_and_saveexec_b32 s0, s1
	s_cbranch_execnz .LBB44_37
.LBB44_25:
	s_or_b32 exec_lo, exec_lo, s0
	s_and_saveexec_b32 s0, s3
	s_cbranch_execz .LBB44_27
.LBB44_26:
	s_waitcnt lgkmcnt(0)
	v_div_scale_f32 v1, null, v3, v3, 1.0
	v_div_scale_f32 v5, vcc_lo, 1.0, v3, 1.0
	s_delay_alu instid0(VALU_DEP_2) | instskip(SKIP_2) | instid1(VALU_DEP_1)
	v_rcp_f32_e32 v2, v1
	s_waitcnt_depctr 0xfff
	v_fma_f32 v4, -v1, v2, 1.0
	v_fmac_f32_e32 v2, v4, v2
	s_delay_alu instid0(VALU_DEP_1) | instskip(NEXT) | instid1(VALU_DEP_1)
	v_mul_f32_e32 v4, v5, v2
	v_fma_f32 v6, -v1, v4, v5
	s_delay_alu instid0(VALU_DEP_1) | instskip(NEXT) | instid1(VALU_DEP_1)
	v_fmac_f32_e32 v4, v6, v2
	v_fma_f32 v1, -v1, v4, v5
	s_delay_alu instid0(VALU_DEP_1) | instskip(SKIP_2) | instid1(VALU_DEP_3)
	v_div_fmas_f32 v1, v1, v2, v4
	v_cmp_lt_f32_e32 vcc_lo, 0, v3
	v_mov_b32_e32 v2, 0
	v_div_fixup_f32 v1, v1, v3, 1.0
	s_delay_alu instid0(VALU_DEP_1)
	v_cndmask_b32_e32 v1, 0, v1, vcc_lo
	ds_store_b32 v2, v1 offset:260
.LBB44_27:
	s_or_b32 exec_lo, exec_lo, s0
	s_waitcnt lgkmcnt(0)
	s_barrier
	buffer_gl0_inv
	s_mov_b32 s0, exec_lo
	v_cmpx_gt_u32_e64 s16, v0
	s_cbranch_execz .LBB44_33
; %bb.28:
	v_mov_b32_e32 v1, 0
	s_cmp_lt_u32 s24, s19
	s_mul_i32 s0, s24, s18
	s_cselect_b32 s1, -1, 0
	s_lshl_b64 s[2:3], s[20:21], 2
	ds_load_b32 v6, v1 offset:260
	s_add_u32 s5, s10, s2
	s_addc_u32 s6, s11, s3
	s_mul_hi_u32 s2, s24, s18
	s_add_u32 s0, s0, s12
	s_addc_u32 s2, s2, 0
	s_mul_hi_u32 s3, s0, s16
	s_mul_i32 s2, s2, s16
	s_mov_b32 s7, 0
	s_add_i32 s3, s3, s2
	s_mul_i32 s2, s0, s16
	s_delay_alu instid0(SALU_CYCLE_1) | instskip(NEXT) | instid1(SALU_CYCLE_1)
	s_lshl_b64 s[2:3], s[2:3], 2
	s_add_u32 s8, s8, s2
	s_addc_u32 s9, s9, s3
	s_mul_hi_u32 s3, s18, s16
	s_mul_i32 s2, s18, s16
	s_lshl_b32 s0, s24, 2
	s_lshl_b64 s[2:3], s[2:3], 2
	s_add_i32 s10, s0, 0x108
	s_set_inst_prefetch_distance 0x1
	s_branch .LBB44_30
	.p2align	6
.LBB44_29:                              ;   in Loop: Header=BB44_30 Depth=1
	v_add_nc_u32_e32 v0, s4, v0
	s_delay_alu instid0(VALU_DEP_3)
	v_add_co_u32 v2, s0, s5, v2
	s_waitcnt lgkmcnt(0)
	v_mul_f32_e32 v4, v6, v7
	v_add_co_ci_u32_e64 v3, s0, s6, v3, s0
	v_cmp_le_u32_e32 vcc_lo, s16, v0
	global_store_b32 v[2:3], v4, off
	s_or_b32 s7, vcc_lo, s7
	s_delay_alu instid0(SALU_CYCLE_1)
	s_and_not1_b32 exec_lo, exec_lo, s7
	s_cbranch_execz .LBB44_33
.LBB44_30:                              ; =>This Loop Header: Depth=1
                                        ;     Child Loop BB44_32 Depth 2
	v_lshlrev_b64 v[2:3], 2, v[0:1]
	v_mov_b32_e32 v7, v1
	s_and_not1_b32 vcc_lo, exec_lo, s1
	s_cbranch_vccnz .LBB44_29
; %bb.31:                               ;   in Loop: Header=BB44_30 Depth=1
	s_delay_alu instid0(VALU_DEP_2) | instskip(NEXT) | instid1(VALU_DEP_3)
	v_add_co_u32 v4, vcc_lo, s8, v2
	v_add_co_ci_u32_e32 v5, vcc_lo, s9, v3, vcc_lo
	v_mov_b32_e32 v7, 0
	s_mov_b32 s0, s10
	s_mov_b32 s11, s24
.LBB44_32:                              ;   Parent Loop BB44_30 Depth=1
                                        ; =>  This Inner Loop Header: Depth=2
	global_load_b32 v8, v[4:5], off
	v_mov_b32_e32 v9, s0
	v_add_co_u32 v4, vcc_lo, v4, s2
	v_add_co_ci_u32_e32 v5, vcc_lo, s3, v5, vcc_lo
	ds_load_b32 v9, v9
	s_add_i32 s11, s11, 1
	s_add_i32 s0, s0, 4
	s_cmp_ge_u32 s11, s19
	s_waitcnt vmcnt(0) lgkmcnt(0)
	v_fmac_f32_e32 v7, v9, v8
	s_cbranch_scc0 .LBB44_32
	s_branch .LBB44_29
.LBB44_33:
	s_set_inst_prefetch_distance 0x2
	s_nop 0
	s_sendmsg sendmsg(MSG_DEALLOC_VGPRS)
	s_endpgm
.LBB44_34:
	v_lshlrev_b32_e32 v8, 2, v7
	ds_load_b32 v8, v8
	s_or_b32 exec_lo, exec_lo, s1
	v_cmp_gt_u32_e64 s1, 32, v0
	s_delay_alu instid0(VALU_DEP_1)
	s_and_saveexec_b32 s3, s1
	s_cbranch_execz .LBB44_15
.LBB44_35:
	s_waitcnt lgkmcnt(0)
	ds_bpermute_b32 v9, v1, v8
	s_waitcnt lgkmcnt(0)
	v_dual_max_f32 v8, v8, v8 :: v_dual_max_f32 v9, v9, v9
	s_delay_alu instid0(VALU_DEP_1) | instskip(SKIP_3) | instid1(VALU_DEP_1)
	v_max_f32_e32 v8, v8, v9
	ds_bpermute_b32 v9, v2, v8
	s_waitcnt lgkmcnt(0)
	v_max_f32_e32 v9, v9, v9
	v_max_f32_e32 v8, v8, v9
	ds_bpermute_b32 v9, v4, v8
	s_waitcnt lgkmcnt(0)
	v_max_f32_e32 v9, v9, v9
	s_delay_alu instid0(VALU_DEP_1) | instskip(SKIP_3) | instid1(VALU_DEP_1)
	v_max_f32_e32 v8, v8, v9
	ds_bpermute_b32 v9, v5, v8
	s_waitcnt lgkmcnt(0)
	v_max_f32_e32 v9, v9, v9
	v_max_f32_e32 v8, v8, v9
	ds_bpermute_b32 v9, v6, v8
	s_waitcnt lgkmcnt(0)
	v_max_f32_e32 v9, v9, v9
	s_delay_alu instid0(VALU_DEP_1) | instskip(SKIP_2) | instid1(VALU_DEP_1)
	v_max_f32_e32 v8, v8, v9
	s_or_b32 exec_lo, exec_lo, s3
	v_cmp_eq_u32_e64 s3, 0, v0
	s_and_saveexec_b32 s5, s3
	s_cbranch_execnz .LBB44_16
	s_branch .LBB44_17
.LBB44_36:
	v_lshlrev_b32_e32 v3, 2, v7
	ds_load_b32 v3, v3 offset:128
	s_or_b32 exec_lo, exec_lo, s2
	s_and_saveexec_b32 s0, s1
	s_cbranch_execz .LBB44_25
.LBB44_37:
	s_waitcnt lgkmcnt(0)
	ds_bpermute_b32 v1, v1, v3
	s_waitcnt lgkmcnt(0)
	v_add_f32_e32 v1, v3, v1
	ds_bpermute_b32 v2, v2, v1
	s_waitcnt lgkmcnt(0)
	v_add_f32_e32 v1, v1, v2
	;; [unrolled: 3-line block ×5, first 2 shown]
	s_or_b32 exec_lo, exec_lo, s0
	s_and_saveexec_b32 s0, s3
	s_cbranch_execnz .LBB44_26
	s_branch .LBB44_27
.LBB44_38:
	v_mov_b32_e32 v4, s2
	s_branch .LBB44_2
	.section	.rodata,"a",@progbits
	.p2align	6, 0x0
	.amdhsa_kernel gemma_attention
		.amdhsa_group_segment_fixed_size 264
		.amdhsa_private_segment_fixed_size 0
		.amdhsa_kernarg_size 312
		.amdhsa_user_sgpr_count 15
		.amdhsa_user_sgpr_dispatch_ptr 0
		.amdhsa_user_sgpr_queue_ptr 0
		.amdhsa_user_sgpr_kernarg_segment_ptr 1
		.amdhsa_user_sgpr_dispatch_id 0
		.amdhsa_user_sgpr_private_segment_size 0
		.amdhsa_wavefront_size32 1
		.amdhsa_uses_dynamic_stack 0
		.amdhsa_enable_private_segment 0
		.amdhsa_system_sgpr_workgroup_id_x 1
		.amdhsa_system_sgpr_workgroup_id_y 0
		.amdhsa_system_sgpr_workgroup_id_z 0
		.amdhsa_system_sgpr_workgroup_info 0
		.amdhsa_system_vgpr_workitem_id 0
		.amdhsa_next_free_vgpr 15
		.amdhsa_next_free_sgpr 29
		.amdhsa_reserve_vcc 1
		.amdhsa_float_round_mode_32 0
		.amdhsa_float_round_mode_16_64 0
		.amdhsa_float_denorm_mode_32 3
		.amdhsa_float_denorm_mode_16_64 3
		.amdhsa_dx10_clamp 1
		.amdhsa_ieee_mode 1
		.amdhsa_fp16_overflow 0
		.amdhsa_workgroup_processor_mode 1
		.amdhsa_memory_ordered 1
		.amdhsa_forward_progress 0
		.amdhsa_shared_vgpr_count 0
		.amdhsa_exception_fp_ieee_invalid_op 0
		.amdhsa_exception_fp_denorm_src 0
		.amdhsa_exception_fp_ieee_div_zero 0
		.amdhsa_exception_fp_ieee_overflow 0
		.amdhsa_exception_fp_ieee_underflow 0
		.amdhsa_exception_fp_ieee_inexact 0
		.amdhsa_exception_int_div_zero 0
	.end_amdhsa_kernel
	.text
.Lfunc_end44:
	.size	gemma_attention, .Lfunc_end44-gemma_attention
                                        ; -- End function
	.section	.AMDGPU.csdata,"",@progbits
; Kernel info:
; codeLenInByte = 2268
; NumSgprs: 31
; NumVgprs: 15
; ScratchSize: 0
; MemoryBound: 0
; FloatMode: 240
; IeeeMode: 1
; LDSByteSize: 264 bytes/workgroup (compile time only)
; SGPRBlocks: 3
; VGPRBlocks: 1
; NumSGPRsForWavesPerEU: 31
; NumVGPRsForWavesPerEU: 15
; Occupancy: 16
; WaveLimiterHint : 0
; COMPUTE_PGM_RSRC2:SCRATCH_EN: 0
; COMPUTE_PGM_RSRC2:USER_SGPR: 15
; COMPUTE_PGM_RSRC2:TRAP_HANDLER: 0
; COMPUTE_PGM_RSRC2:TGID_X_EN: 1
; COMPUTE_PGM_RSRC2:TGID_Y_EN: 0
; COMPUTE_PGM_RSRC2:TGID_Z_EN: 0
; COMPUTE_PGM_RSRC2:TIDIG_COMP_CNT: 0
	.text
	.protected	deinterleave_qgate      ; -- Begin function deinterleave_qgate
	.globl	deinterleave_qgate
	.p2align	8
	.type	deinterleave_qgate,@function
deinterleave_qgate:                     ; @deinterleave_qgate
; %bb.0:
	s_clause 0x1
	s_load_b32 s4, s[0:1], 0x2c
	s_load_b64 s[2:3], s[0:1], 0x18
	s_waitcnt lgkmcnt(0)
	s_and_b32 s4, s4, 0xffff
	s_mul_i32 s3, s3, s2
	v_mad_u64_u32 v[1:2], null, s15, s4, v[0:1]
	s_delay_alu instid0(VALU_DEP_1)
	v_cmp_gt_u32_e32 vcc_lo, s3, v1
	s_and_saveexec_b32 s3, vcc_lo
	s_cbranch_execz .LBB45_2
; %bb.1:
	v_cvt_f32_u32_e32 v0, s2
	s_sub_i32 s3, 0, s2
	s_clause 0x1
	s_load_b128 s[4:7], s[0:1], 0x0
	s_load_b64 s[0:1], s[0:1], 0x10
	v_rcp_iflag_f32_e32 v0, v0
	s_waitcnt_depctr 0xfff
	v_mul_f32_e32 v0, 0x4f7ffffe, v0
	s_delay_alu instid0(VALU_DEP_1) | instskip(NEXT) | instid1(VALU_DEP_1)
	v_cvt_u32_f32_e32 v0, v0
	v_mul_lo_u32 v2, s3, v0
	s_delay_alu instid0(VALU_DEP_1) | instskip(NEXT) | instid1(VALU_DEP_1)
	v_mul_hi_u32 v2, v0, v2
	v_add_nc_u32_e32 v0, v0, v2
	s_delay_alu instid0(VALU_DEP_1) | instskip(NEXT) | instid1(VALU_DEP_1)
	v_mul_hi_u32 v0, v1, v0
	v_mul_lo_u32 v2, v0, s2
	v_add_nc_u32_e32 v3, 1, v0
	s_delay_alu instid0(VALU_DEP_2) | instskip(NEXT) | instid1(VALU_DEP_1)
	v_sub_nc_u32_e32 v2, v1, v2
	v_subrev_nc_u32_e32 v4, s2, v2
	v_cmp_le_u32_e32 vcc_lo, s2, v2
	s_delay_alu instid0(VALU_DEP_4) | instskip(NEXT) | instid1(VALU_DEP_3)
	v_cndmask_b32_e32 v0, v0, v3, vcc_lo
	v_cndmask_b32_e32 v2, v2, v4, vcc_lo
	s_delay_alu instid0(VALU_DEP_1) | instskip(NEXT) | instid1(VALU_DEP_3)
	v_cmp_le_u32_e32 vcc_lo, s2, v2
	v_dual_mov_b32 v2, 0 :: v_dual_add_nc_u32 v3, 1, v0
	s_delay_alu instid0(VALU_DEP_1) | instskip(NEXT) | instid1(VALU_DEP_2)
	v_mov_b32_e32 v4, v2
	v_cndmask_b32_e32 v0, v0, v3, vcc_lo
	s_delay_alu instid0(VALU_DEP_1) | instskip(NEXT) | instid1(VALU_DEP_1)
	v_mul_lo_u32 v0, v0, s2
	v_sub_nc_u32_e32 v3, v1, v0
	s_delay_alu instid0(VALU_DEP_1) | instskip(NEXT) | instid1(VALU_DEP_1)
	v_lshl_add_u32 v3, v0, 1, v3
	v_lshlrev_b64 v[4:5], 2, v[3:4]
	s_waitcnt lgkmcnt(0)
	s_delay_alu instid0(VALU_DEP_1) | instskip(NEXT) | instid1(VALU_DEP_2)
	v_add_co_u32 v4, vcc_lo, s4, v4
	v_add_co_ci_u32_e32 v5, vcc_lo, s5, v5, vcc_lo
	global_load_b32 v6, v[4:5], off
	v_lshlrev_b64 v[4:5], 2, v[1:2]
	v_add_nc_u32_e32 v1, s2, v3
	s_delay_alu instid0(VALU_DEP_1) | instskip(NEXT) | instid1(VALU_DEP_3)
	v_lshlrev_b64 v[0:1], 2, v[1:2]
	v_add_co_u32 v2, vcc_lo, s6, v4
	s_delay_alu instid0(VALU_DEP_4) | instskip(NEXT) | instid1(VALU_DEP_3)
	v_add_co_ci_u32_e32 v3, vcc_lo, s7, v5, vcc_lo
	v_add_co_u32 v0, vcc_lo, s4, v0
	s_delay_alu instid0(VALU_DEP_4)
	v_add_co_ci_u32_e32 v1, vcc_lo, s5, v1, vcc_lo
	s_waitcnt vmcnt(0)
	global_store_b32 v[2:3], v6, off
	global_load_b32 v2, v[0:1], off
	v_add_co_u32 v0, vcc_lo, s0, v4
	v_add_co_ci_u32_e32 v1, vcc_lo, s1, v5, vcc_lo
	s_waitcnt vmcnt(0)
	global_store_b32 v[0:1], v2, off
.LBB45_2:
	s_nop 0
	s_sendmsg sendmsg(MSG_DEALLOC_VGPRS)
	s_endpgm
	.section	.rodata,"a",@progbits
	.p2align	6, 0x0
	.amdhsa_kernel deinterleave_qgate
		.amdhsa_group_segment_fixed_size 0
		.amdhsa_private_segment_fixed_size 0
		.amdhsa_kernarg_size 288
		.amdhsa_user_sgpr_count 15
		.amdhsa_user_sgpr_dispatch_ptr 0
		.amdhsa_user_sgpr_queue_ptr 0
		.amdhsa_user_sgpr_kernarg_segment_ptr 1
		.amdhsa_user_sgpr_dispatch_id 0
		.amdhsa_user_sgpr_private_segment_size 0
		.amdhsa_wavefront_size32 1
		.amdhsa_uses_dynamic_stack 0
		.amdhsa_enable_private_segment 0
		.amdhsa_system_sgpr_workgroup_id_x 1
		.amdhsa_system_sgpr_workgroup_id_y 0
		.amdhsa_system_sgpr_workgroup_id_z 0
		.amdhsa_system_sgpr_workgroup_info 0
		.amdhsa_system_vgpr_workitem_id 0
		.amdhsa_next_free_vgpr 7
		.amdhsa_next_free_sgpr 16
		.amdhsa_reserve_vcc 1
		.amdhsa_float_round_mode_32 0
		.amdhsa_float_round_mode_16_64 0
		.amdhsa_float_denorm_mode_32 3
		.amdhsa_float_denorm_mode_16_64 3
		.amdhsa_dx10_clamp 1
		.amdhsa_ieee_mode 1
		.amdhsa_fp16_overflow 0
		.amdhsa_workgroup_processor_mode 1
		.amdhsa_memory_ordered 1
		.amdhsa_forward_progress 0
		.amdhsa_shared_vgpr_count 0
		.amdhsa_exception_fp_ieee_invalid_op 0
		.amdhsa_exception_fp_denorm_src 0
		.amdhsa_exception_fp_ieee_div_zero 0
		.amdhsa_exception_fp_ieee_overflow 0
		.amdhsa_exception_fp_ieee_underflow 0
		.amdhsa_exception_fp_ieee_inexact 0
		.amdhsa_exception_int_div_zero 0
	.end_amdhsa_kernel
	.text
.Lfunc_end45:
	.size	deinterleave_qgate, .Lfunc_end45-deinterleave_qgate
                                        ; -- End function
	.section	.AMDGPU.csdata,"",@progbits
; Kernel info:
; codeLenInByte = 392
; NumSgprs: 18
; NumVgprs: 7
; ScratchSize: 0
; MemoryBound: 0
; FloatMode: 240
; IeeeMode: 1
; LDSByteSize: 0 bytes/workgroup (compile time only)
; SGPRBlocks: 2
; VGPRBlocks: 0
; NumSGPRsForWavesPerEU: 18
; NumVGPRsForWavesPerEU: 7
; Occupancy: 16
; WaveLimiterHint : 0
; COMPUTE_PGM_RSRC2:SCRATCH_EN: 0
; COMPUTE_PGM_RSRC2:USER_SGPR: 15
; COMPUTE_PGM_RSRC2:TRAP_HANDLER: 0
; COMPUTE_PGM_RSRC2:TGID_X_EN: 1
; COMPUTE_PGM_RSRC2:TGID_Y_EN: 0
; COMPUTE_PGM_RSRC2:TGID_Z_EN: 0
; COMPUTE_PGM_RSRC2:TIDIG_COMP_CNT: 0
	.text
	.p2alignl 7, 3214868480
	.fill 96, 4, 3214868480
	.type	__hip_cuid_66f5895f7e9d52c2,@object ; @__hip_cuid_66f5895f7e9d52c2
	.section	.bss,"aw",@nobits
	.globl	__hip_cuid_66f5895f7e9d52c2
__hip_cuid_66f5895f7e9d52c2:
	.byte	0                               ; 0x0
	.size	__hip_cuid_66f5895f7e9d52c2, 1

	.ident	"AMD clang version 19.0.0git (https://github.com/RadeonOpenCompute/llvm-project roc-6.4.0 25133 c7fe45cf4b819c5991fe208aaa96edf142730f1d)"
	.section	".note.GNU-stack","",@progbits
	.addrsig
	.addrsig_sym __hip_cuid_66f5895f7e9d52c2
	.amdgpu_metadata
---
amdhsa.kernels:
  - .args:
      - .address_space:  global
        .offset:         0
        .size:           8
        .value_kind:     global_buffer
      - .address_space:  global
        .offset:         8
        .size:           8
        .value_kind:     global_buffer
      - .address_space:  global
        .offset:         16
        .size:           8
        .value_kind:     global_buffer
      - .offset:         24
        .size:           8
        .value_kind:     by_value
      - .offset:         32
        .size:           4
        .value_kind:     hidden_block_count_x
      - .offset:         36
        .size:           4
        .value_kind:     hidden_block_count_y
      - .offset:         40
        .size:           4
        .value_kind:     hidden_block_count_z
      - .offset:         44
        .size:           2
        .value_kind:     hidden_group_size_x
      - .offset:         46
        .size:           2
        .value_kind:     hidden_group_size_y
      - .offset:         48
        .size:           2
        .value_kind:     hidden_group_size_z
      - .offset:         50
        .size:           2
        .value_kind:     hidden_remainder_x
      - .offset:         52
        .size:           2
        .value_kind:     hidden_remainder_y
      - .offset:         54
        .size:           2
        .value_kind:     hidden_remainder_z
      - .offset:         72
        .size:           8
        .value_kind:     hidden_global_offset_x
      - .offset:         80
        .size:           8
        .value_kind:     hidden_global_offset_y
      - .offset:         88
        .size:           8
        .value_kind:     hidden_global_offset_z
      - .offset:         96
        .size:           2
        .value_kind:     hidden_grid_dims
    .group_segment_fixed_size: 132
    .kernarg_segment_align: 8
    .kernarg_segment_size: 288
    .language:       OpenCL C
    .language_version:
      - 2
      - 0
    .max_flat_workgroup_size: 1024
    .name:           rms_norm
    .private_segment_fixed_size: 0
    .sgpr_count:     18
    .sgpr_spill_count: 0
    .symbol:         rms_norm.kd
    .uniform_work_group_size: 1
    .uses_dynamic_stack: false
    .vgpr_count:     9
    .vgpr_spill_count: 0
    .wavefront_size: 32
    .workgroup_processor_mode: 1
  - .args:
      - .address_space:  global
        .offset:         0
        .size:           8
        .value_kind:     global_buffer
      - .address_space:  global
        .offset:         8
        .size:           8
        .value_kind:     global_buffer
      - .address_space:  global
        .offset:         16
        .size:           8
        .value_kind:     global_buffer
      - .offset:         24
        .size:           8
        .value_kind:     by_value
      - .offset:         32
        .size:           4
        .value_kind:     hidden_block_count_x
      - .offset:         36
        .size:           4
        .value_kind:     hidden_block_count_y
      - .offset:         40
        .size:           4
        .value_kind:     hidden_block_count_z
      - .offset:         44
        .size:           2
        .value_kind:     hidden_group_size_x
      - .offset:         46
        .size:           2
        .value_kind:     hidden_group_size_y
      - .offset:         48
        .size:           2
        .value_kind:     hidden_group_size_z
      - .offset:         50
        .size:           2
        .value_kind:     hidden_remainder_x
      - .offset:         52
        .size:           2
        .value_kind:     hidden_remainder_y
      - .offset:         54
        .size:           2
        .value_kind:     hidden_remainder_z
      - .offset:         72
        .size:           8
        .value_kind:     hidden_global_offset_x
      - .offset:         80
        .size:           8
        .value_kind:     hidden_global_offset_y
      - .offset:         88
        .size:           8
        .value_kind:     hidden_global_offset_z
      - .offset:         96
        .size:           2
        .value_kind:     hidden_grid_dims
    .group_segment_fixed_size: 132
    .kernarg_segment_align: 8
    .kernarg_segment_size: 288
    .language:       OpenCL C
    .language_version:
      - 2
      - 0
    .max_flat_workgroup_size: 1024
    .name:           rms_norm_residual
    .private_segment_fixed_size: 0
    .sgpr_count:     18
    .sgpr_spill_count: 0
    .symbol:         rms_norm_residual.kd
    .uniform_work_group_size: 1
    .uses_dynamic_stack: false
    .vgpr_count:     9
    .vgpr_spill_count: 0
    .wavefront_size: 32
    .workgroup_processor_mode: 1
  - .args:
      - .address_space:  global
        .offset:         0
        .size:           8
        .value_kind:     global_buffer
      - .address_space:  global
        .offset:         8
        .size:           8
        .value_kind:     global_buffer
      - .address_space:  global
        .offset:         16
        .size:           8
        .value_kind:     global_buffer
      - .address_space:  global
        .offset:         24
        .size:           8
        .value_kind:     global_buffer
      - .offset:         32
        .size:           8
        .value_kind:     by_value
      - .offset:         40
        .size:           4
        .value_kind:     hidden_block_count_x
      - .offset:         44
        .size:           4
        .value_kind:     hidden_block_count_y
      - .offset:         48
        .size:           4
        .value_kind:     hidden_block_count_z
      - .offset:         52
        .size:           2
        .value_kind:     hidden_group_size_x
      - .offset:         54
        .size:           2
        .value_kind:     hidden_group_size_y
      - .offset:         56
        .size:           2
        .value_kind:     hidden_group_size_z
      - .offset:         58
        .size:           2
        .value_kind:     hidden_remainder_x
      - .offset:         60
        .size:           2
        .value_kind:     hidden_remainder_y
      - .offset:         62
        .size:           2
        .value_kind:     hidden_remainder_z
      - .offset:         80
        .size:           8
        .value_kind:     hidden_global_offset_x
      - .offset:         88
        .size:           8
        .value_kind:     hidden_global_offset_y
      - .offset:         96
        .size:           8
        .value_kind:     hidden_global_offset_z
      - .offset:         104
        .size:           2
        .value_kind:     hidden_grid_dims
    .group_segment_fixed_size: 132
    .kernarg_segment_align: 8
    .kernarg_segment_size: 296
    .language:       OpenCL C
    .language_version:
      - 2
      - 0
    .max_flat_workgroup_size: 1024
    .name:           rms_norm_residual_scale
    .private_segment_fixed_size: 0
    .sgpr_count:     20
    .sgpr_spill_count: 0
    .symbol:         rms_norm_residual_scale.kd
    .uniform_work_group_size: 1
    .uses_dynamic_stack: false
    .vgpr_count:     9
    .vgpr_spill_count: 0
    .wavefront_size: 32
    .workgroup_processor_mode: 1
  - .args:
      - .address_space:  global
        .offset:         0
        .size:           8
        .value_kind:     global_buffer
      - .address_space:  global
        .offset:         8
        .size:           8
        .value_kind:     global_buffer
      - .address_space:  global
        .offset:         16
        .size:           8
        .value_kind:     global_buffer
      - .address_space:  global
        .offset:         24
        .size:           8
        .value_kind:     global_buffer
      - .offset:         32
        .size:           20
        .value_kind:     by_value
      - .offset:         56
        .size:           4
        .value_kind:     hidden_block_count_x
      - .offset:         60
        .size:           4
        .value_kind:     hidden_block_count_y
      - .offset:         64
        .size:           4
        .value_kind:     hidden_block_count_z
      - .offset:         68
        .size:           2
        .value_kind:     hidden_group_size_x
      - .offset:         70
        .size:           2
        .value_kind:     hidden_group_size_y
      - .offset:         72
        .size:           2
        .value_kind:     hidden_group_size_z
      - .offset:         74
        .size:           2
        .value_kind:     hidden_remainder_x
      - .offset:         76
        .size:           2
        .value_kind:     hidden_remainder_y
      - .offset:         78
        .size:           2
        .value_kind:     hidden_remainder_z
      - .offset:         96
        .size:           8
        .value_kind:     hidden_global_offset_x
      - .offset:         104
        .size:           8
        .value_kind:     hidden_global_offset_y
      - .offset:         112
        .size:           8
        .value_kind:     hidden_global_offset_z
      - .offset:         120
        .size:           2
        .value_kind:     hidden_grid_dims
      - .offset:         176
        .size:           4
        .value_kind:     hidden_dynamic_lds_size
    .group_segment_fixed_size: 132
    .kernarg_segment_align: 8
    .kernarg_segment_size: 312
    .language:       OpenCL C
    .language_version:
      - 2
      - 0
    .max_flat_workgroup_size: 1024
    .name:           rms_norm_rope
    .private_segment_fixed_size: 0
    .sgpr_count:     24
    .sgpr_spill_count: 0
    .symbol:         rms_norm_rope.kd
    .uniform_work_group_size: 1
    .uses_dynamic_stack: false
    .vgpr_count:     24
    .vgpr_spill_count: 0
    .wavefront_size: 32
    .workgroup_processor_mode: 1
  - .args:
      - .address_space:  global
        .offset:         0
        .size:           8
        .value_kind:     global_buffer
      - .address_space:  global
        .offset:         8
        .size:           8
        .value_kind:     global_buffer
      - .address_space:  global
        .offset:         16
        .size:           8
        .value_kind:     global_buffer
      - .offset:         24
        .size:           24
        .value_kind:     by_value
      - .offset:         48
        .size:           4
        .value_kind:     hidden_block_count_x
      - .offset:         52
        .size:           4
        .value_kind:     hidden_block_count_y
      - .offset:         56
        .size:           4
        .value_kind:     hidden_block_count_z
      - .offset:         60
        .size:           2
        .value_kind:     hidden_group_size_x
      - .offset:         62
        .size:           2
        .value_kind:     hidden_group_size_y
      - .offset:         64
        .size:           2
        .value_kind:     hidden_group_size_z
      - .offset:         66
        .size:           2
        .value_kind:     hidden_remainder_x
      - .offset:         68
        .size:           2
        .value_kind:     hidden_remainder_y
      - .offset:         70
        .size:           2
        .value_kind:     hidden_remainder_z
      - .offset:         88
        .size:           8
        .value_kind:     hidden_global_offset_x
      - .offset:         96
        .size:           8
        .value_kind:     hidden_global_offset_y
      - .offset:         104
        .size:           8
        .value_kind:     hidden_global_offset_z
      - .offset:         112
        .size:           2
        .value_kind:     hidden_grid_dims
    .group_segment_fixed_size: 128
    .kernarg_segment_align: 8
    .kernarg_segment_size: 304
    .language:       OpenCL C
    .language_version:
      - 2
      - 0
    .max_flat_workgroup_size: 1024
    .name:           dmmv_q4k
    .private_segment_fixed_size: 0
    .sgpr_count:     22
    .sgpr_spill_count: 0
    .symbol:         dmmv_q4k.kd
    .uniform_work_group_size: 1
    .uses_dynamic_stack: false
    .vgpr_count:     14
    .vgpr_spill_count: 0
    .wavefront_size: 32
    .workgroup_processor_mode: 1
  - .args:
      - .address_space:  global
        .offset:         0
        .size:           8
        .value_kind:     global_buffer
      - .address_space:  global
        .offset:         8
        .size:           8
        .value_kind:     global_buffer
      - .address_space:  global
        .offset:         16
        .size:           8
        .value_kind:     global_buffer
      - .offset:         24
        .size:           4
        .value_kind:     by_value
      - .offset:         32
        .size:           4
        .value_kind:     hidden_block_count_x
      - .offset:         36
        .size:           4
        .value_kind:     hidden_block_count_y
      - .offset:         40
        .size:           4
        .value_kind:     hidden_block_count_z
      - .offset:         44
        .size:           2
        .value_kind:     hidden_group_size_x
      - .offset:         46
        .size:           2
        .value_kind:     hidden_group_size_y
      - .offset:         48
        .size:           2
        .value_kind:     hidden_group_size_z
      - .offset:         50
        .size:           2
        .value_kind:     hidden_remainder_x
      - .offset:         52
        .size:           2
        .value_kind:     hidden_remainder_y
      - .offset:         54
        .size:           2
        .value_kind:     hidden_remainder_z
      - .offset:         72
        .size:           8
        .value_kind:     hidden_global_offset_x
      - .offset:         80
        .size:           8
        .value_kind:     hidden_global_offset_y
      - .offset:         88
        .size:           8
        .value_kind:     hidden_global_offset_z
      - .offset:         96
        .size:           2
        .value_kind:     hidden_grid_dims
    .group_segment_fixed_size: 0
    .kernarg_segment_align: 8
    .kernarg_segment_size: 288
    .language:       OpenCL C
    .language_version:
      - 2
      - 0
    .max_flat_workgroup_size: 1024
    .name:           swiglu
    .private_segment_fixed_size: 0
    .sgpr_count:     18
    .sgpr_spill_count: 0
    .symbol:         swiglu.kd
    .uniform_work_group_size: 1
    .uses_dynamic_stack: false
    .vgpr_count:     10
    .vgpr_spill_count: 0
    .wavefront_size: 32
    .workgroup_processor_mode: 1
  - .args:
      - .address_space:  global
        .offset:         0
        .size:           8
        .value_kind:     global_buffer
      - .address_space:  global
        .offset:         8
        .size:           8
        .value_kind:     global_buffer
      - .offset:         16
        .size:           8
        .value_kind:     by_value
      - .offset:         24
        .size:           4
        .value_kind:     hidden_block_count_x
      - .offset:         28
        .size:           4
        .value_kind:     hidden_block_count_y
      - .offset:         32
        .size:           4
        .value_kind:     hidden_block_count_z
      - .offset:         36
        .size:           2
        .value_kind:     hidden_group_size_x
      - .offset:         38
        .size:           2
        .value_kind:     hidden_group_size_y
      - .offset:         40
        .size:           2
        .value_kind:     hidden_group_size_z
      - .offset:         42
        .size:           2
        .value_kind:     hidden_remainder_x
      - .offset:         44
        .size:           2
        .value_kind:     hidden_remainder_y
      - .offset:         46
        .size:           2
        .value_kind:     hidden_remainder_z
      - .offset:         64
        .size:           8
        .value_kind:     hidden_global_offset_x
      - .offset:         72
        .size:           8
        .value_kind:     hidden_global_offset_y
      - .offset:         80
        .size:           8
        .value_kind:     hidden_global_offset_z
      - .offset:         88
        .size:           2
        .value_kind:     hidden_grid_dims
    .group_segment_fixed_size: 0
    .kernarg_segment_align: 8
    .kernarg_segment_size: 280
    .language:       OpenCL C
    .language_version:
      - 2
      - 0
    .max_flat_workgroup_size: 1024
    .name:           scale_accumulate
    .private_segment_fixed_size: 0
    .sgpr_count:     18
    .sgpr_spill_count: 0
    .symbol:         scale_accumulate.kd
    .uniform_work_group_size: 1
    .uses_dynamic_stack: false
    .vgpr_count:     4
    .vgpr_spill_count: 0
    .wavefront_size: 32
    .workgroup_processor_mode: 1
  - .args:
      - .address_space:  global
        .offset:         0
        .size:           8
        .value_kind:     global_buffer
      - .address_space:  global
        .offset:         8
        .size:           8
        .value_kind:     global_buffer
      - .address_space:  global
        .offset:         16
        .size:           8
        .value_kind:     global_buffer
      - .offset:         24
        .size:           4
        .value_kind:     by_value
      - .offset:         32
        .size:           4
        .value_kind:     hidden_block_count_x
      - .offset:         36
        .size:           4
        .value_kind:     hidden_block_count_y
      - .offset:         40
        .size:           4
        .value_kind:     hidden_block_count_z
      - .offset:         44
        .size:           2
        .value_kind:     hidden_group_size_x
      - .offset:         46
        .size:           2
        .value_kind:     hidden_group_size_y
      - .offset:         48
        .size:           2
        .value_kind:     hidden_group_size_z
      - .offset:         50
        .size:           2
        .value_kind:     hidden_remainder_x
      - .offset:         52
        .size:           2
        .value_kind:     hidden_remainder_y
      - .offset:         54
        .size:           2
        .value_kind:     hidden_remainder_z
      - .offset:         72
        .size:           8
        .value_kind:     hidden_global_offset_x
      - .offset:         80
        .size:           8
        .value_kind:     hidden_global_offset_y
      - .offset:         88
        .size:           8
        .value_kind:     hidden_global_offset_z
      - .offset:         96
        .size:           2
        .value_kind:     hidden_grid_dims
    .group_segment_fixed_size: 0
    .kernarg_segment_align: 8
    .kernarg_segment_size: 288
    .language:       OpenCL C
    .language_version:
      - 2
      - 0
    .max_flat_workgroup_size: 1024
    .name:           sigmoid_scale_acc
    .private_segment_fixed_size: 0
    .sgpr_count:     18
    .sgpr_spill_count: 0
    .symbol:         sigmoid_scale_acc.kd
    .uniform_work_group_size: 1
    .uses_dynamic_stack: false
    .vgpr_count:     10
    .vgpr_spill_count: 0
    .wavefront_size: 32
    .workgroup_processor_mode: 1
  - .args:
      - .address_space:  global
        .offset:         0
        .size:           8
        .value_kind:     global_buffer
      - .address_space:  global
        .offset:         8
        .size:           8
        .value_kind:     global_buffer
      - .address_space:  global
        .offset:         16
        .size:           8
        .value_kind:     global_buffer
      - .offset:         24
        .size:           24
        .value_kind:     by_value
      - .offset:         48
        .size:           4
        .value_kind:     hidden_block_count_x
      - .offset:         52
        .size:           4
        .value_kind:     hidden_block_count_y
      - .offset:         56
        .size:           4
        .value_kind:     hidden_block_count_z
      - .offset:         60
        .size:           2
        .value_kind:     hidden_group_size_x
      - .offset:         62
        .size:           2
        .value_kind:     hidden_group_size_y
      - .offset:         64
        .size:           2
        .value_kind:     hidden_group_size_z
      - .offset:         66
        .size:           2
        .value_kind:     hidden_remainder_x
      - .offset:         68
        .size:           2
        .value_kind:     hidden_remainder_y
      - .offset:         70
        .size:           2
        .value_kind:     hidden_remainder_z
      - .offset:         88
        .size:           8
        .value_kind:     hidden_global_offset_x
      - .offset:         96
        .size:           8
        .value_kind:     hidden_global_offset_y
      - .offset:         104
        .size:           8
        .value_kind:     hidden_global_offset_z
      - .offset:         112
        .size:           2
        .value_kind:     hidden_grid_dims
    .group_segment_fixed_size: 128
    .kernarg_segment_align: 8
    .kernarg_segment_size: 304
    .language:       OpenCL C
    .language_version:
      - 2
      - 0
    .max_flat_workgroup_size: 1024
    .name:           dmmv_f32
    .private_segment_fixed_size: 0
    .sgpr_count:     22
    .sgpr_spill_count: 0
    .symbol:         dmmv_f32.kd
    .uniform_work_group_size: 1
    .uses_dynamic_stack: false
    .vgpr_count:     9
    .vgpr_spill_count: 0
    .wavefront_size: 32
    .workgroup_processor_mode: 1
  - .args:
      - .address_space:  global
        .offset:         0
        .size:           8
        .value_kind:     global_buffer
      - .address_space:  global
        .offset:         8
        .size:           8
        .value_kind:     global_buffer
      - .address_space:  global
        .offset:         16
        .size:           8
        .value_kind:     global_buffer
      - .offset:         24
        .size:           24
        .value_kind:     by_value
      - .offset:         48
        .size:           4
        .value_kind:     hidden_block_count_x
      - .offset:         52
        .size:           4
        .value_kind:     hidden_block_count_y
      - .offset:         56
        .size:           4
        .value_kind:     hidden_block_count_z
      - .offset:         60
        .size:           2
        .value_kind:     hidden_group_size_x
      - .offset:         62
        .size:           2
        .value_kind:     hidden_group_size_y
      - .offset:         64
        .size:           2
        .value_kind:     hidden_group_size_z
      - .offset:         66
        .size:           2
        .value_kind:     hidden_remainder_x
      - .offset:         68
        .size:           2
        .value_kind:     hidden_remainder_y
      - .offset:         70
        .size:           2
        .value_kind:     hidden_remainder_z
      - .offset:         88
        .size:           8
        .value_kind:     hidden_global_offset_x
      - .offset:         96
        .size:           8
        .value_kind:     hidden_global_offset_y
      - .offset:         104
        .size:           8
        .value_kind:     hidden_global_offset_z
      - .offset:         112
        .size:           2
        .value_kind:     hidden_grid_dims
    .group_segment_fixed_size: 128
    .kernarg_segment_align: 8
    .kernarg_segment_size: 304
    .language:       OpenCL C
    .language_version:
      - 2
      - 0
    .max_flat_workgroup_size: 1024
    .name:           dmmv_q8_0
    .private_segment_fixed_size: 0
    .sgpr_count:     22
    .sgpr_spill_count: 0
    .symbol:         dmmv_q8_0.kd
    .uniform_work_group_size: 1
    .uses_dynamic_stack: false
    .vgpr_count:     11
    .vgpr_spill_count: 0
    .wavefront_size: 32
    .workgroup_processor_mode: 1
  - .args:
      - .address_space:  global
        .offset:         0
        .size:           8
        .value_kind:     global_buffer
      - .address_space:  global
        .offset:         8
        .size:           8
        .value_kind:     global_buffer
      - .address_space:  global
        .offset:         16
        .size:           8
        .value_kind:     global_buffer
      - .offset:         24
        .size:           24
        .value_kind:     by_value
      - .offset:         48
        .size:           4
        .value_kind:     hidden_block_count_x
      - .offset:         52
        .size:           4
        .value_kind:     hidden_block_count_y
      - .offset:         56
        .size:           4
        .value_kind:     hidden_block_count_z
      - .offset:         60
        .size:           2
        .value_kind:     hidden_group_size_x
      - .offset:         62
        .size:           2
        .value_kind:     hidden_group_size_y
      - .offset:         64
        .size:           2
        .value_kind:     hidden_group_size_z
      - .offset:         66
        .size:           2
        .value_kind:     hidden_remainder_x
      - .offset:         68
        .size:           2
        .value_kind:     hidden_remainder_y
      - .offset:         70
        .size:           2
        .value_kind:     hidden_remainder_z
      - .offset:         88
        .size:           8
        .value_kind:     hidden_global_offset_x
      - .offset:         96
        .size:           8
        .value_kind:     hidden_global_offset_y
      - .offset:         104
        .size:           8
        .value_kind:     hidden_global_offset_z
      - .offset:         112
        .size:           2
        .value_kind:     hidden_grid_dims
    .group_segment_fixed_size: 128
    .kernarg_segment_align: 8
    .kernarg_segment_size: 304
    .language:       OpenCL C
    .language_version:
      - 2
      - 0
    .max_flat_workgroup_size: 1024
    .name:           dmmv_q5_1
    .private_segment_fixed_size: 0
    .sgpr_count:     22
    .sgpr_spill_count: 0
    .symbol:         dmmv_q5_1.kd
    .uniform_work_group_size: 1
    .uses_dynamic_stack: false
    .vgpr_count:     12
    .vgpr_spill_count: 0
    .wavefront_size: 32
    .workgroup_processor_mode: 1
  - .args:
      - .address_space:  global
        .offset:         0
        .size:           8
        .value_kind:     global_buffer
      - .address_space:  global
        .offset:         8
        .size:           8
        .value_kind:     global_buffer
      - .address_space:  global
        .offset:         16
        .size:           8
        .value_kind:     global_buffer
      - .offset:         24
        .size:           24
        .value_kind:     by_value
      - .offset:         48
        .size:           4
        .value_kind:     hidden_block_count_x
      - .offset:         52
        .size:           4
        .value_kind:     hidden_block_count_y
      - .offset:         56
        .size:           4
        .value_kind:     hidden_block_count_z
      - .offset:         60
        .size:           2
        .value_kind:     hidden_group_size_x
      - .offset:         62
        .size:           2
        .value_kind:     hidden_group_size_y
      - .offset:         64
        .size:           2
        .value_kind:     hidden_group_size_z
      - .offset:         66
        .size:           2
        .value_kind:     hidden_remainder_x
      - .offset:         68
        .size:           2
        .value_kind:     hidden_remainder_y
      - .offset:         70
        .size:           2
        .value_kind:     hidden_remainder_z
      - .offset:         88
        .size:           8
        .value_kind:     hidden_global_offset_x
      - .offset:         96
        .size:           8
        .value_kind:     hidden_global_offset_y
      - .offset:         104
        .size:           8
        .value_kind:     hidden_global_offset_z
      - .offset:         112
        .size:           2
        .value_kind:     hidden_grid_dims
    .group_segment_fixed_size: 128
    .kernarg_segment_align: 8
    .kernarg_segment_size: 304
    .language:       OpenCL C
    .language_version:
      - 2
      - 0
    .max_flat_workgroup_size: 1024
    .name:           dmmv_q5k
    .private_segment_fixed_size: 0
    .sgpr_count:     22
    .sgpr_spill_count: 0
    .symbol:         dmmv_q5k.kd
    .uniform_work_group_size: 1
    .uses_dynamic_stack: false
    .vgpr_count:     14
    .vgpr_spill_count: 0
    .wavefront_size: 32
    .workgroup_processor_mode: 1
  - .args:
      - .address_space:  global
        .offset:         0
        .size:           8
        .value_kind:     global_buffer
      - .address_space:  global
        .offset:         8
        .size:           8
        .value_kind:     global_buffer
      - .address_space:  global
        .offset:         16
        .size:           8
        .value_kind:     global_buffer
      - .offset:         24
        .size:           24
        .value_kind:     by_value
      - .offset:         48
        .size:           4
        .value_kind:     hidden_block_count_x
      - .offset:         52
        .size:           4
        .value_kind:     hidden_block_count_y
      - .offset:         56
        .size:           4
        .value_kind:     hidden_block_count_z
      - .offset:         60
        .size:           2
        .value_kind:     hidden_group_size_x
      - .offset:         62
        .size:           2
        .value_kind:     hidden_group_size_y
      - .offset:         64
        .size:           2
        .value_kind:     hidden_group_size_z
      - .offset:         66
        .size:           2
        .value_kind:     hidden_remainder_x
      - .offset:         68
        .size:           2
        .value_kind:     hidden_remainder_y
      - .offset:         70
        .size:           2
        .value_kind:     hidden_remainder_z
      - .offset:         88
        .size:           8
        .value_kind:     hidden_global_offset_x
      - .offset:         96
        .size:           8
        .value_kind:     hidden_global_offset_y
      - .offset:         104
        .size:           8
        .value_kind:     hidden_global_offset_z
      - .offset:         112
        .size:           2
        .value_kind:     hidden_grid_dims
    .group_segment_fixed_size: 128
    .kernarg_segment_align: 8
    .kernarg_segment_size: 304
    .language:       OpenCL C
    .language_version:
      - 2
      - 0
    .max_flat_workgroup_size: 1024
    .name:           dmmv_q6k
    .private_segment_fixed_size: 0
    .sgpr_count:     21
    .sgpr_spill_count: 0
    .symbol:         dmmv_q6k.kd
    .uniform_work_group_size: 1
    .uses_dynamic_stack: false
    .vgpr_count:     16
    .vgpr_spill_count: 0
    .wavefront_size: 32
    .workgroup_processor_mode: 1
  - .args:
      - .address_space:  global
        .offset:         0
        .size:           8
        .value_kind:     global_buffer
      - .address_space:  global
        .offset:         8
        .size:           8
        .value_kind:     global_buffer
      - .offset:         16
        .size:           8
        .value_kind:     by_value
    .group_segment_fixed_size: 1536
    .kernarg_segment_align: 8
    .kernarg_segment_size: 24
    .language:       OpenCL C
    .language_version:
      - 2
      - 0
    .max_flat_workgroup_size: 1024
    .name:           softmax_topk
    .private_segment_fixed_size: 0
    .sgpr_count:     16
    .sgpr_spill_count: 0
    .symbol:         softmax_topk.kd
    .uniform_work_group_size: 1
    .uses_dynamic_stack: false
    .vgpr_count:     23
    .vgpr_spill_count: 0
    .wavefront_size: 32
    .workgroup_processor_mode: 1
  - .args:
      - .address_space:  global
        .offset:         0
        .size:           8
        .value_kind:     global_buffer
      - .address_space:  global
        .offset:         8
        .size:           8
        .value_kind:     global_buffer
      - .address_space:  global
        .offset:         16
        .size:           8
        .value_kind:     global_buffer
      - .offset:         24
        .size:           24
        .value_kind:     by_value
      - .offset:         48
        .size:           4
        .value_kind:     hidden_block_count_x
      - .offset:         52
        .size:           4
        .value_kind:     hidden_block_count_y
      - .offset:         56
        .size:           4
        .value_kind:     hidden_block_count_z
      - .offset:         60
        .size:           2
        .value_kind:     hidden_group_size_x
      - .offset:         62
        .size:           2
        .value_kind:     hidden_group_size_y
      - .offset:         64
        .size:           2
        .value_kind:     hidden_group_size_z
      - .offset:         66
        .size:           2
        .value_kind:     hidden_remainder_x
      - .offset:         68
        .size:           2
        .value_kind:     hidden_remainder_y
      - .offset:         70
        .size:           2
        .value_kind:     hidden_remainder_z
      - .offset:         88
        .size:           8
        .value_kind:     hidden_global_offset_x
      - .offset:         96
        .size:           8
        .value_kind:     hidden_global_offset_y
      - .offset:         104
        .size:           8
        .value_kind:     hidden_global_offset_z
      - .offset:         112
        .size:           2
        .value_kind:     hidden_grid_dims
    .group_segment_fixed_size: 0
    .kernarg_segment_align: 8
    .kernarg_segment_size: 304
    .language:       OpenCL C
    .language_version:
      - 2
      - 0
    .max_flat_workgroup_size: 1024
    .name:           rope
    .private_segment_fixed_size: 0
    .sgpr_count:     30
    .sgpr_spill_count: 0
    .symbol:         rope.kd
    .uniform_work_group_size: 1
    .uses_dynamic_stack: false
    .vgpr_count:     30
    .vgpr_spill_count: 0
    .wavefront_size: 32
    .workgroup_processor_mode: 1
  - .args:
      - .address_space:  global
        .offset:         0
        .size:           8
        .value_kind:     global_buffer
      - .address_space:  global
        .offset:         8
        .size:           8
        .value_kind:     global_buffer
      - .offset:         16
        .size:           4
        .value_kind:     by_value
      - .offset:         24
        .size:           4
        .value_kind:     hidden_block_count_x
      - .offset:         28
        .size:           4
        .value_kind:     hidden_block_count_y
      - .offset:         32
        .size:           4
        .value_kind:     hidden_block_count_z
      - .offset:         36
        .size:           2
        .value_kind:     hidden_group_size_x
      - .offset:         38
        .size:           2
        .value_kind:     hidden_group_size_y
      - .offset:         40
        .size:           2
        .value_kind:     hidden_group_size_z
      - .offset:         42
        .size:           2
        .value_kind:     hidden_remainder_x
      - .offset:         44
        .size:           2
        .value_kind:     hidden_remainder_y
      - .offset:         46
        .size:           2
        .value_kind:     hidden_remainder_z
      - .offset:         64
        .size:           8
        .value_kind:     hidden_global_offset_x
      - .offset:         72
        .size:           8
        .value_kind:     hidden_global_offset_y
      - .offset:         80
        .size:           8
        .value_kind:     hidden_global_offset_z
      - .offset:         88
        .size:           2
        .value_kind:     hidden_grid_dims
    .group_segment_fixed_size: 256
    .kernarg_segment_align: 8
    .kernarg_segment_size: 280
    .language:       OpenCL C
    .language_version:
      - 2
      - 0
    .max_flat_workgroup_size: 1024
    .name:           argmax
    .private_segment_fixed_size: 0
    .sgpr_count:     13
    .sgpr_spill_count: 0
    .symbol:         argmax.kd
    .uniform_work_group_size: 1
    .uses_dynamic_stack: false
    .vgpr_count:     7
    .vgpr_spill_count: 0
    .wavefront_size: 32
    .workgroup_processor_mode: 1
  - .args:
      - .address_space:  global
        .offset:         0
        .size:           8
        .value_kind:     global_buffer
      - .address_space:  global
        .offset:         8
        .size:           8
        .value_kind:     global_buffer
      - .address_space:  global
        .offset:         16
        .size:           8
        .value_kind:     global_buffer
      - .offset:         24
        .size:           12
        .value_kind:     by_value
      - .offset:         40
        .size:           4
        .value_kind:     hidden_block_count_x
      - .offset:         44
        .size:           4
        .value_kind:     hidden_block_count_y
      - .offset:         48
        .size:           4
        .value_kind:     hidden_block_count_z
      - .offset:         52
        .size:           2
        .value_kind:     hidden_group_size_x
      - .offset:         54
        .size:           2
        .value_kind:     hidden_group_size_y
      - .offset:         56
        .size:           2
        .value_kind:     hidden_group_size_z
      - .offset:         58
        .size:           2
        .value_kind:     hidden_remainder_x
      - .offset:         60
        .size:           2
        .value_kind:     hidden_remainder_y
      - .offset:         62
        .size:           2
        .value_kind:     hidden_remainder_z
      - .offset:         80
        .size:           8
        .value_kind:     hidden_global_offset_x
      - .offset:         88
        .size:           8
        .value_kind:     hidden_global_offset_y
      - .offset:         96
        .size:           8
        .value_kind:     hidden_global_offset_z
      - .offset:         104
        .size:           2
        .value_kind:     hidden_grid_dims
    .group_segment_fixed_size: 0
    .kernarg_segment_align: 8
    .kernarg_segment_size: 296
    .language:       OpenCL C
    .language_version:
      - 2
      - 0
    .max_flat_workgroup_size: 1024
    .name:           moe_weighted_acc
    .private_segment_fixed_size: 0
    .sgpr_count:     18
    .sgpr_spill_count: 0
    .symbol:         moe_weighted_acc.kd
    .uniform_work_group_size: 1
    .uses_dynamic_stack: false
    .vgpr_count:     7
    .vgpr_spill_count: 0
    .wavefront_size: 32
    .workgroup_processor_mode: 1
  - .args:
      - .address_space:  global
        .offset:         0
        .size:           8
        .value_kind:     global_buffer
      - .address_space:  global
        .offset:         8
        .size:           8
        .value_kind:     global_buffer
      - .address_space:  global
        .offset:         16
        .size:           8
        .value_kind:     global_buffer
      - .address_space:  global
        .offset:         24
        .size:           8
        .value_kind:     global_buffer
      - .offset:         32
        .size:           12
        .value_kind:     by_value
      - .offset:         48
        .size:           4
        .value_kind:     hidden_block_count_x
      - .offset:         52
        .size:           4
        .value_kind:     hidden_block_count_y
      - .offset:         56
        .size:           4
        .value_kind:     hidden_block_count_z
      - .offset:         60
        .size:           2
        .value_kind:     hidden_group_size_x
      - .offset:         62
        .size:           2
        .value_kind:     hidden_group_size_y
      - .offset:         64
        .size:           2
        .value_kind:     hidden_group_size_z
      - .offset:         66
        .size:           2
        .value_kind:     hidden_remainder_x
      - .offset:         68
        .size:           2
        .value_kind:     hidden_remainder_y
      - .offset:         70
        .size:           2
        .value_kind:     hidden_remainder_z
      - .offset:         88
        .size:           8
        .value_kind:     hidden_global_offset_x
      - .offset:         96
        .size:           8
        .value_kind:     hidden_global_offset_y
      - .offset:         104
        .size:           8
        .value_kind:     hidden_global_offset_z
      - .offset:         112
        .size:           2
        .value_kind:     hidden_grid_dims
    .group_segment_fixed_size: 0
    .kernarg_segment_align: 8
    .kernarg_segment_size: 304
    .language:       OpenCL C
    .language_version:
      - 2
      - 0
    .max_flat_workgroup_size: 1024
    .name:           moe_weighted_acc_scaled
    .private_segment_fixed_size: 0
    .sgpr_count:     20
    .sgpr_spill_count: 0
    .symbol:         moe_weighted_acc_scaled.kd
    .uniform_work_group_size: 1
    .uses_dynamic_stack: false
    .vgpr_count:     8
    .vgpr_spill_count: 0
    .wavefront_size: 32
    .workgroup_processor_mode: 1
  - .args:
      - .address_space:  global
        .offset:         0
        .size:           8
        .value_kind:     global_buffer
      - .address_space:  global
        .offset:         8
        .size:           8
        .value_kind:     global_buffer
      - .address_space:  global
        .offset:         16
        .size:           8
        .value_kind:     global_buffer
      - .address_space:  global
        .offset:         24
        .size:           8
        .value_kind:     global_buffer
      - .offset:         32
        .size:           16
        .value_kind:     by_value
      - .offset:         48
        .size:           4
        .value_kind:     hidden_block_count_x
      - .offset:         52
        .size:           4
        .value_kind:     hidden_block_count_y
      - .offset:         56
        .size:           4
        .value_kind:     hidden_block_count_z
      - .offset:         60
        .size:           2
        .value_kind:     hidden_group_size_x
      - .offset:         62
        .size:           2
        .value_kind:     hidden_group_size_y
      - .offset:         64
        .size:           2
        .value_kind:     hidden_group_size_z
      - .offset:         66
        .size:           2
        .value_kind:     hidden_remainder_x
      - .offset:         68
        .size:           2
        .value_kind:     hidden_remainder_y
      - .offset:         70
        .size:           2
        .value_kind:     hidden_remainder_z
      - .offset:         88
        .size:           8
        .value_kind:     hidden_global_offset_x
      - .offset:         96
        .size:           8
        .value_kind:     hidden_global_offset_y
      - .offset:         104
        .size:           8
        .value_kind:     hidden_global_offset_z
      - .offset:         112
        .size:           2
        .value_kind:     hidden_grid_dims
    .group_segment_fixed_size: 0
    .kernarg_segment_align: 8
    .kernarg_segment_size: 304
    .language:       OpenCL C
    .language_version:
      - 2
      - 0
    .max_flat_workgroup_size: 1024
    .name:           ssm_conv1d
    .private_segment_fixed_size: 0
    .sgpr_count:     19
    .sgpr_spill_count: 0
    .symbol:         ssm_conv1d.kd
    .uniform_work_group_size: 1
    .uses_dynamic_stack: false
    .vgpr_count:     14
    .vgpr_spill_count: 0
    .wavefront_size: 32
    .workgroup_processor_mode: 1
  - .args:
      - .address_space:  global
        .offset:         0
        .size:           8
        .value_kind:     global_buffer
      - .address_space:  global
        .offset:         8
        .size:           8
        .value_kind:     global_buffer
      - .address_space:  global
        .offset:         16
        .size:           8
        .value_kind:     global_buffer
      - .address_space:  global
        .offset:         24
        .size:           8
        .value_kind:     global_buffer
      - .offset:         32
        .size:           20
        .value_kind:     by_value
      - .offset:         56
        .size:           4
        .value_kind:     hidden_block_count_x
      - .offset:         60
        .size:           4
        .value_kind:     hidden_block_count_y
      - .offset:         64
        .size:           4
        .value_kind:     hidden_block_count_z
      - .offset:         68
        .size:           2
        .value_kind:     hidden_group_size_x
      - .offset:         70
        .size:           2
        .value_kind:     hidden_group_size_y
      - .offset:         72
        .size:           2
        .value_kind:     hidden_group_size_z
      - .offset:         74
        .size:           2
        .value_kind:     hidden_remainder_x
      - .offset:         76
        .size:           2
        .value_kind:     hidden_remainder_y
      - .offset:         78
        .size:           2
        .value_kind:     hidden_remainder_z
      - .offset:         96
        .size:           8
        .value_kind:     hidden_global_offset_x
      - .offset:         104
        .size:           8
        .value_kind:     hidden_global_offset_y
      - .offset:         112
        .size:           8
        .value_kind:     hidden_global_offset_z
      - .offset:         120
        .size:           2
        .value_kind:     hidden_grid_dims
    .group_segment_fixed_size: 132
    .kernarg_segment_align: 8
    .kernarg_segment_size: 312
    .language:       OpenCL C
    .language_version:
      - 2
      - 0
    .max_flat_workgroup_size: 1024
    .name:           ssm_gated_norm
    .private_segment_fixed_size: 0
    .sgpr_count:     22
    .sgpr_spill_count: 0
    .symbol:         ssm_gated_norm.kd
    .uniform_work_group_size: 1
    .uses_dynamic_stack: false
    .vgpr_count:     15
    .vgpr_spill_count: 0
    .wavefront_size: 32
    .workgroup_processor_mode: 1
  - .args:
      - .address_space:  global
        .offset:         0
        .size:           8
        .value_kind:     global_buffer
      - .address_space:  global
        .offset:         8
        .size:           8
        .value_kind:     global_buffer
      - .address_space:  global
        .offset:         16
        .size:           8
        .value_kind:     global_buffer
      - .address_space:  global
        .offset:         24
        .size:           8
        .value_kind:     global_buffer
      - .offset:         32
        .size:           8
        .value_kind:     by_value
      - .offset:         40
        .size:           4
        .value_kind:     hidden_block_count_x
      - .offset:         44
        .size:           4
        .value_kind:     hidden_block_count_y
      - .offset:         48
        .size:           4
        .value_kind:     hidden_block_count_z
      - .offset:         52
        .size:           2
        .value_kind:     hidden_group_size_x
      - .offset:         54
        .size:           2
        .value_kind:     hidden_group_size_y
      - .offset:         56
        .size:           2
        .value_kind:     hidden_group_size_z
      - .offset:         58
        .size:           2
        .value_kind:     hidden_remainder_x
      - .offset:         60
        .size:           2
        .value_kind:     hidden_remainder_y
      - .offset:         62
        .size:           2
        .value_kind:     hidden_remainder_z
      - .offset:         80
        .size:           8
        .value_kind:     hidden_global_offset_x
      - .offset:         88
        .size:           8
        .value_kind:     hidden_global_offset_y
      - .offset:         96
        .size:           8
        .value_kind:     hidden_global_offset_z
      - .offset:         104
        .size:           2
        .value_kind:     hidden_grid_dims
    .group_segment_fixed_size: 0
    .kernarg_segment_align: 8
    .kernarg_segment_size: 296
    .language:       OpenCL C
    .language_version:
      - 2
      - 0
    .max_flat_workgroup_size: 1024
    .name:           kv_cache_write
    .private_segment_fixed_size: 0
    .sgpr_count:     18
    .sgpr_spill_count: 0
    .symbol:         kv_cache_write.kd
    .uniform_work_group_size: 1
    .uses_dynamic_stack: false
    .vgpr_count:     8
    .vgpr_spill_count: 0
    .wavefront_size: 32
    .workgroup_processor_mode: 1
  - .args:
      - .address_space:  global
        .offset:         0
        .size:           8
        .value_kind:     global_buffer
      - .address_space:  global
        .offset:         8
        .size:           8
        .value_kind:     global_buffer
      - .address_space:  global
        .offset:         16
        .size:           8
        .value_kind:     global_buffer
      - .address_space:  global
        .offset:         24
        .size:           8
        .value_kind:     global_buffer
      - .address_space:  global
        .offset:         32
        .size:           8
        .value_kind:     global_buffer
      - .offset:         40
        .size:           24
        .value_kind:     by_value
      - .offset:         64
        .size:           4
        .value_kind:     hidden_block_count_x
      - .offset:         68
        .size:           4
        .value_kind:     hidden_block_count_y
      - .offset:         72
        .size:           4
        .value_kind:     hidden_block_count_z
      - .offset:         76
        .size:           2
        .value_kind:     hidden_group_size_x
      - .offset:         78
        .size:           2
        .value_kind:     hidden_group_size_y
      - .offset:         80
        .size:           2
        .value_kind:     hidden_group_size_z
      - .offset:         82
        .size:           2
        .value_kind:     hidden_remainder_x
      - .offset:         84
        .size:           2
        .value_kind:     hidden_remainder_y
      - .offset:         86
        .size:           2
        .value_kind:     hidden_remainder_z
      - .offset:         104
        .size:           8
        .value_kind:     hidden_global_offset_x
      - .offset:         112
        .size:           8
        .value_kind:     hidden_global_offset_y
      - .offset:         120
        .size:           8
        .value_kind:     hidden_global_offset_z
      - .offset:         128
        .size:           2
        .value_kind:     hidden_grid_dims
      - .offset:         184
        .size:           4
        .value_kind:     hidden_dynamic_lds_size
    .group_segment_fixed_size: 268
    .kernarg_segment_align: 8
    .kernarg_segment_size: 320
    .language:       OpenCL C
    .language_version:
      - 2
      - 0
    .max_flat_workgroup_size: 1024
    .name:           naive_attention
    .private_segment_fixed_size: 0
    .sgpr_count:     36
    .sgpr_spill_count: 0
    .symbol:         naive_attention.kd
    .uniform_work_group_size: 1
    .uses_dynamic_stack: false
    .vgpr_count:     17
    .vgpr_spill_count: 0
    .wavefront_size: 32
    .workgroup_processor_mode: 1
  - .args:
      - .address_space:  global
        .offset:         0
        .size:           8
        .value_kind:     global_buffer
      - .address_space:  global
        .offset:         8
        .size:           8
        .value_kind:     global_buffer
      - .address_space:  global
        .offset:         16
        .size:           8
        .value_kind:     global_buffer
      - .address_space:  global
        .offset:         24
        .size:           8
        .value_kind:     global_buffer
      - .address_space:  global
        .offset:         32
        .size:           8
        .value_kind:     global_buffer
      - .address_space:  global
        .offset:         40
        .size:           8
        .value_kind:     global_buffer
      - .address_space:  global
        .offset:         48
        .size:           8
        .value_kind:     global_buffer
      - .offset:         56
        .size:           52
        .value_kind:     by_value
      - .offset:         112
        .size:           4
        .value_kind:     hidden_block_count_x
      - .offset:         116
        .size:           4
        .value_kind:     hidden_block_count_y
      - .offset:         120
        .size:           4
        .value_kind:     hidden_block_count_z
      - .offset:         124
        .size:           2
        .value_kind:     hidden_group_size_x
      - .offset:         126
        .size:           2
        .value_kind:     hidden_group_size_y
      - .offset:         128
        .size:           2
        .value_kind:     hidden_group_size_z
      - .offset:         130
        .size:           2
        .value_kind:     hidden_remainder_x
      - .offset:         132
        .size:           2
        .value_kind:     hidden_remainder_y
      - .offset:         134
        .size:           2
        .value_kind:     hidden_remainder_z
      - .offset:         152
        .size:           8
        .value_kind:     hidden_global_offset_x
      - .offset:         160
        .size:           8
        .value_kind:     hidden_global_offset_y
      - .offset:         168
        .size:           8
        .value_kind:     hidden_global_offset_z
      - .offset:         176
        .size:           2
        .value_kind:     hidden_grid_dims
    .group_segment_fixed_size: 140
    .kernarg_segment_align: 8
    .kernarg_segment_size: 368
    .language:       OpenCL C
    .language_version:
      - 2
      - 0
    .max_flat_workgroup_size: 1024
    .name:           ssm_delta_net
    .private_segment_fixed_size: 0
    .sgpr_count:     42
    .sgpr_spill_count: 0
    .symbol:         ssm_delta_net.kd
    .uniform_work_group_size: 1
    .uses_dynamic_stack: false
    .vgpr_count:     27
    .vgpr_spill_count: 0
    .wavefront_size: 32
    .workgroup_processor_mode: 1
  - .args:
      - .address_space:  global
        .offset:         0
        .size:           8
        .value_kind:     global_buffer
      - .address_space:  global
        .offset:         8
        .size:           8
        .value_kind:     global_buffer
      - .address_space:  global
        .offset:         16
        .size:           8
        .value_kind:     global_buffer
      - .offset:         24
        .size:           24
        .value_kind:     by_value
      - .offset:         48
        .size:           4
        .value_kind:     hidden_block_count_x
      - .offset:         52
        .size:           4
        .value_kind:     hidden_block_count_y
      - .offset:         56
        .size:           4
        .value_kind:     hidden_block_count_z
      - .offset:         60
        .size:           2
        .value_kind:     hidden_group_size_x
      - .offset:         62
        .size:           2
        .value_kind:     hidden_group_size_y
      - .offset:         64
        .size:           2
        .value_kind:     hidden_group_size_z
      - .offset:         66
        .size:           2
        .value_kind:     hidden_remainder_x
      - .offset:         68
        .size:           2
        .value_kind:     hidden_remainder_y
      - .offset:         70
        .size:           2
        .value_kind:     hidden_remainder_z
      - .offset:         88
        .size:           8
        .value_kind:     hidden_global_offset_x
      - .offset:         96
        .size:           8
        .value_kind:     hidden_global_offset_y
      - .offset:         104
        .size:           8
        .value_kind:     hidden_global_offset_z
      - .offset:         112
        .size:           2
        .value_kind:     hidden_grid_dims
    .group_segment_fixed_size: 128
    .kernarg_segment_align: 8
    .kernarg_segment_size: 304
    .language:       OpenCL C
    .language_version:
      - 2
      - 0
    .max_flat_workgroup_size: 1024
    .name:           dmmv_q4k_fast
    .private_segment_fixed_size: 0
    .sgpr_count:     21
    .sgpr_spill_count: 0
    .symbol:         dmmv_q4k_fast.kd
    .uniform_work_group_size: 1
    .uses_dynamic_stack: false
    .vgpr_count:     50
    .vgpr_spill_count: 0
    .wavefront_size: 32
    .workgroup_processor_mode: 1
  - .args:
      - .address_space:  global
        .offset:         0
        .size:           8
        .value_kind:     global_buffer
      - .address_space:  global
        .offset:         8
        .size:           8
        .value_kind:     global_buffer
      - .address_space:  global
        .offset:         16
        .size:           8
        .value_kind:     global_buffer
      - .offset:         24
        .size:           24
        .value_kind:     by_value
      - .offset:         48
        .size:           4
        .value_kind:     hidden_block_count_x
      - .offset:         52
        .size:           4
        .value_kind:     hidden_block_count_y
      - .offset:         56
        .size:           4
        .value_kind:     hidden_block_count_z
      - .offset:         60
        .size:           2
        .value_kind:     hidden_group_size_x
      - .offset:         62
        .size:           2
        .value_kind:     hidden_group_size_y
      - .offset:         64
        .size:           2
        .value_kind:     hidden_group_size_z
      - .offset:         66
        .size:           2
        .value_kind:     hidden_remainder_x
      - .offset:         68
        .size:           2
        .value_kind:     hidden_remainder_y
      - .offset:         70
        .size:           2
        .value_kind:     hidden_remainder_z
      - .offset:         88
        .size:           8
        .value_kind:     hidden_global_offset_x
      - .offset:         96
        .size:           8
        .value_kind:     hidden_global_offset_y
      - .offset:         104
        .size:           8
        .value_kind:     hidden_global_offset_z
      - .offset:         112
        .size:           2
        .value_kind:     hidden_grid_dims
    .group_segment_fixed_size: 128
    .kernarg_segment_align: 8
    .kernarg_segment_size: 304
    .language:       OpenCL C
    .language_version:
      - 2
      - 0
    .max_flat_workgroup_size: 1024
    .name:           dmmv_q6k_fast
    .private_segment_fixed_size: 0
    .sgpr_count:     19
    .sgpr_spill_count: 0
    .symbol:         dmmv_q6k_fast.kd
    .uniform_work_group_size: 1
    .uses_dynamic_stack: false
    .vgpr_count:     63
    .vgpr_spill_count: 0
    .wavefront_size: 32
    .workgroup_processor_mode: 1
  - .args:
      - .address_space:  global
        .offset:         0
        .size:           8
        .value_kind:     global_buffer
      - .address_space:  global
        .offset:         8
        .size:           8
        .value_kind:     global_buffer
      - .address_space:  global
        .offset:         16
        .size:           8
        .value_kind:     global_buffer
      - .offset:         24
        .size:           24
        .value_kind:     by_value
      - .offset:         48
        .size:           4
        .value_kind:     hidden_block_count_x
      - .offset:         52
        .size:           4
        .value_kind:     hidden_block_count_y
      - .offset:         56
        .size:           4
        .value_kind:     hidden_block_count_z
      - .offset:         60
        .size:           2
        .value_kind:     hidden_group_size_x
      - .offset:         62
        .size:           2
        .value_kind:     hidden_group_size_y
      - .offset:         64
        .size:           2
        .value_kind:     hidden_group_size_z
      - .offset:         66
        .size:           2
        .value_kind:     hidden_remainder_x
      - .offset:         68
        .size:           2
        .value_kind:     hidden_remainder_y
      - .offset:         70
        .size:           2
        .value_kind:     hidden_remainder_z
      - .offset:         88
        .size:           8
        .value_kind:     hidden_global_offset_x
      - .offset:         96
        .size:           8
        .value_kind:     hidden_global_offset_y
      - .offset:         104
        .size:           8
        .value_kind:     hidden_global_offset_z
      - .offset:         112
        .size:           2
        .value_kind:     hidden_grid_dims
    .group_segment_fixed_size: 128
    .kernarg_segment_align: 8
    .kernarg_segment_size: 304
    .language:       OpenCL C
    .language_version:
      - 2
      - 0
    .max_flat_workgroup_size: 1024
    .name:           dmmv_q5k_fast
    .private_segment_fixed_size: 0
    .sgpr_count:     21
    .sgpr_spill_count: 0
    .symbol:         dmmv_q5k_fast.kd
    .uniform_work_group_size: 1
    .uses_dynamic_stack: false
    .vgpr_count:     80
    .vgpr_spill_count: 0
    .wavefront_size: 32
    .workgroup_processor_mode: 1
  - .args:
      - .address_space:  global
        .offset:         0
        .size:           8
        .value_kind:     global_buffer
      - .address_space:  global
        .offset:         8
        .size:           8
        .value_kind:     global_buffer
      - .address_space:  global
        .offset:         16
        .size:           8
        .value_kind:     global_buffer
      - .address_space:  global
        .offset:         24
        .size:           8
        .value_kind:     global_buffer
      - .offset:         32
        .size:           24
        .value_kind:     by_value
      - .offset:         56
        .size:           4
        .value_kind:     hidden_block_count_x
      - .offset:         60
        .size:           4
        .value_kind:     hidden_block_count_y
      - .offset:         64
        .size:           4
        .value_kind:     hidden_block_count_z
      - .offset:         68
        .size:           2
        .value_kind:     hidden_group_size_x
      - .offset:         70
        .size:           2
        .value_kind:     hidden_group_size_y
      - .offset:         72
        .size:           2
        .value_kind:     hidden_group_size_z
      - .offset:         74
        .size:           2
        .value_kind:     hidden_remainder_x
      - .offset:         76
        .size:           2
        .value_kind:     hidden_remainder_y
      - .offset:         78
        .size:           2
        .value_kind:     hidden_remainder_z
      - .offset:         96
        .size:           8
        .value_kind:     hidden_global_offset_x
      - .offset:         104
        .size:           8
        .value_kind:     hidden_global_offset_y
      - .offset:         112
        .size:           8
        .value_kind:     hidden_global_offset_z
      - .offset:         120
        .size:           2
        .value_kind:     hidden_grid_dims
    .group_segment_fixed_size: 128
    .kernarg_segment_align: 8
    .kernarg_segment_size: 312
    .language:       OpenCL C
    .language_version:
      - 2
      - 0
    .max_flat_workgroup_size: 1024
    .name:           dmmv_q4k_experts
    .private_segment_fixed_size: 0
    .sgpr_count:     24
    .sgpr_spill_count: 0
    .symbol:         dmmv_q4k_experts.kd
    .uniform_work_group_size: 1
    .uses_dynamic_stack: false
    .vgpr_count:     50
    .vgpr_spill_count: 0
    .wavefront_size: 32
    .workgroup_processor_mode: 1
  - .args:
      - .address_space:  global
        .offset:         0
        .size:           8
        .value_kind:     global_buffer
      - .address_space:  global
        .offset:         8
        .size:           8
        .value_kind:     global_buffer
      - .address_space:  global
        .offset:         16
        .size:           8
        .value_kind:     global_buffer
      - .address_space:  global
        .offset:         24
        .size:           8
        .value_kind:     global_buffer
      - .offset:         32
        .size:           24
        .value_kind:     by_value
      - .offset:         56
        .size:           4
        .value_kind:     hidden_block_count_x
      - .offset:         60
        .size:           4
        .value_kind:     hidden_block_count_y
      - .offset:         64
        .size:           4
        .value_kind:     hidden_block_count_z
      - .offset:         68
        .size:           2
        .value_kind:     hidden_group_size_x
      - .offset:         70
        .size:           2
        .value_kind:     hidden_group_size_y
      - .offset:         72
        .size:           2
        .value_kind:     hidden_group_size_z
      - .offset:         74
        .size:           2
        .value_kind:     hidden_remainder_x
      - .offset:         76
        .size:           2
        .value_kind:     hidden_remainder_y
      - .offset:         78
        .size:           2
        .value_kind:     hidden_remainder_z
      - .offset:         96
        .size:           8
        .value_kind:     hidden_global_offset_x
      - .offset:         104
        .size:           8
        .value_kind:     hidden_global_offset_y
      - .offset:         112
        .size:           8
        .value_kind:     hidden_global_offset_z
      - .offset:         120
        .size:           2
        .value_kind:     hidden_grid_dims
    .group_segment_fixed_size: 128
    .kernarg_segment_align: 8
    .kernarg_segment_size: 312
    .language:       OpenCL C
    .language_version:
      - 2
      - 0
    .max_flat_workgroup_size: 1024
    .name:           dmmv_q5k_experts
    .private_segment_fixed_size: 0
    .sgpr_count:     22
    .sgpr_spill_count: 0
    .symbol:         dmmv_q5k_experts.kd
    .uniform_work_group_size: 1
    .uses_dynamic_stack: false
    .vgpr_count:     80
    .vgpr_spill_count: 0
    .wavefront_size: 32
    .workgroup_processor_mode: 1
  - .args:
      - .address_space:  global
        .offset:         0
        .size:           8
        .value_kind:     global_buffer
      - .address_space:  global
        .offset:         8
        .size:           8
        .value_kind:     global_buffer
      - .address_space:  global
        .offset:         16
        .size:           8
        .value_kind:     global_buffer
      - .address_space:  global
        .offset:         24
        .size:           8
        .value_kind:     global_buffer
      - .offset:         32
        .size:           24
        .value_kind:     by_value
      - .offset:         56
        .size:           4
        .value_kind:     hidden_block_count_x
      - .offset:         60
        .size:           4
        .value_kind:     hidden_block_count_y
      - .offset:         64
        .size:           4
        .value_kind:     hidden_block_count_z
      - .offset:         68
        .size:           2
        .value_kind:     hidden_group_size_x
      - .offset:         70
        .size:           2
        .value_kind:     hidden_group_size_y
      - .offset:         72
        .size:           2
        .value_kind:     hidden_group_size_z
      - .offset:         74
        .size:           2
        .value_kind:     hidden_remainder_x
      - .offset:         76
        .size:           2
        .value_kind:     hidden_remainder_y
      - .offset:         78
        .size:           2
        .value_kind:     hidden_remainder_z
      - .offset:         96
        .size:           8
        .value_kind:     hidden_global_offset_x
      - .offset:         104
        .size:           8
        .value_kind:     hidden_global_offset_y
      - .offset:         112
        .size:           8
        .value_kind:     hidden_global_offset_z
      - .offset:         120
        .size:           2
        .value_kind:     hidden_grid_dims
    .group_segment_fixed_size: 128
    .kernarg_segment_align: 8
    .kernarg_segment_size: 312
    .language:       OpenCL C
    .language_version:
      - 2
      - 0
    .max_flat_workgroup_size: 1024
    .name:           dmmv_q5_1_experts
    .private_segment_fixed_size: 0
    .sgpr_count:     26
    .sgpr_spill_count: 0
    .symbol:         dmmv_q5_1_experts.kd
    .uniform_work_group_size: 1
    .uses_dynamic_stack: false
    .vgpr_count:     12
    .vgpr_spill_count: 0
    .wavefront_size: 32
    .workgroup_processor_mode: 1
  - .args:
      - .address_space:  global
        .offset:         0
        .size:           8
        .value_kind:     global_buffer
      - .address_space:  global
        .offset:         8
        .size:           8
        .value_kind:     global_buffer
      - .address_space:  global
        .offset:         16
        .size:           8
        .value_kind:     global_buffer
      - .offset:         24
        .size:           24
        .value_kind:     by_value
      - .offset:         48
        .size:           4
        .value_kind:     hidden_block_count_x
      - .offset:         52
        .size:           4
        .value_kind:     hidden_block_count_y
      - .offset:         56
        .size:           4
        .value_kind:     hidden_block_count_z
      - .offset:         60
        .size:           2
        .value_kind:     hidden_group_size_x
      - .offset:         62
        .size:           2
        .value_kind:     hidden_group_size_y
      - .offset:         64
        .size:           2
        .value_kind:     hidden_group_size_z
      - .offset:         66
        .size:           2
        .value_kind:     hidden_remainder_x
      - .offset:         68
        .size:           2
        .value_kind:     hidden_remainder_y
      - .offset:         70
        .size:           2
        .value_kind:     hidden_remainder_z
      - .offset:         88
        .size:           8
        .value_kind:     hidden_global_offset_x
      - .offset:         96
        .size:           8
        .value_kind:     hidden_global_offset_y
      - .offset:         104
        .size:           8
        .value_kind:     hidden_global_offset_z
      - .offset:         112
        .size:           2
        .value_kind:     hidden_grid_dims
    .group_segment_fixed_size: 128
    .kernarg_segment_align: 8
    .kernarg_segment_size: 304
    .language:       OpenCL C
    .language_version:
      - 2
      - 0
    .max_flat_workgroup_size: 1024
    .name:           dmmv_q8_0_fast
    .private_segment_fixed_size: 0
    .sgpr_count:     22
    .sgpr_spill_count: 0
    .symbol:         dmmv_q8_0_fast.kd
    .uniform_work_group_size: 1
    .uses_dynamic_stack: false
    .vgpr_count:     72
    .vgpr_spill_count: 0
    .wavefront_size: 32
    .workgroup_processor_mode: 1
  - .args:
      - .address_space:  global
        .offset:         0
        .size:           8
        .value_kind:     global_buffer
      - .address_space:  global
        .offset:         8
        .size:           8
        .value_kind:     global_buffer
      - .address_space:  global
        .offset:         16
        .size:           8
        .value_kind:     global_buffer
      - .offset:         24
        .size:           24
        .value_kind:     by_value
      - .offset:         48
        .size:           4
        .value_kind:     hidden_block_count_x
      - .offset:         52
        .size:           4
        .value_kind:     hidden_block_count_y
      - .offset:         56
        .size:           4
        .value_kind:     hidden_block_count_z
      - .offset:         60
        .size:           2
        .value_kind:     hidden_group_size_x
      - .offset:         62
        .size:           2
        .value_kind:     hidden_group_size_y
      - .offset:         64
        .size:           2
        .value_kind:     hidden_group_size_z
      - .offset:         66
        .size:           2
        .value_kind:     hidden_remainder_x
      - .offset:         68
        .size:           2
        .value_kind:     hidden_remainder_y
      - .offset:         70
        .size:           2
        .value_kind:     hidden_remainder_z
      - .offset:         88
        .size:           8
        .value_kind:     hidden_global_offset_x
      - .offset:         96
        .size:           8
        .value_kind:     hidden_global_offset_y
      - .offset:         104
        .size:           8
        .value_kind:     hidden_global_offset_z
      - .offset:         112
        .size:           2
        .value_kind:     hidden_grid_dims
    .group_segment_fixed_size: 128
    .kernarg_segment_align: 8
    .kernarg_segment_size: 304
    .language:       OpenCL C
    .language_version:
      - 2
      - 0
    .max_flat_workgroup_size: 1024
    .name:           dmmv_q4k_mr2
    .private_segment_fixed_size: 0
    .sgpr_count:     26
    .sgpr_spill_count: 0
    .symbol:         dmmv_q4k_mr2.kd
    .uniform_work_group_size: 1
    .uses_dynamic_stack: false
    .vgpr_count:     60
    .vgpr_spill_count: 0
    .wavefront_size: 32
    .workgroup_processor_mode: 1
  - .args:
      - .address_space:  global
        .offset:         0
        .size:           8
        .value_kind:     global_buffer
      - .address_space:  global
        .offset:         8
        .size:           8
        .value_kind:     global_buffer
      - .address_space:  global
        .offset:         16
        .size:           8
        .value_kind:     global_buffer
      - .offset:         24
        .size:           24
        .value_kind:     by_value
      - .offset:         48
        .size:           4
        .value_kind:     hidden_block_count_x
      - .offset:         52
        .size:           4
        .value_kind:     hidden_block_count_y
      - .offset:         56
        .size:           4
        .value_kind:     hidden_block_count_z
      - .offset:         60
        .size:           2
        .value_kind:     hidden_group_size_x
      - .offset:         62
        .size:           2
        .value_kind:     hidden_group_size_y
      - .offset:         64
        .size:           2
        .value_kind:     hidden_group_size_z
      - .offset:         66
        .size:           2
        .value_kind:     hidden_remainder_x
      - .offset:         68
        .size:           2
        .value_kind:     hidden_remainder_y
      - .offset:         70
        .size:           2
        .value_kind:     hidden_remainder_z
      - .offset:         88
        .size:           8
        .value_kind:     hidden_global_offset_x
      - .offset:         96
        .size:           8
        .value_kind:     hidden_global_offset_y
      - .offset:         104
        .size:           8
        .value_kind:     hidden_global_offset_z
      - .offset:         112
        .size:           2
        .value_kind:     hidden_grid_dims
    .group_segment_fixed_size: 128
    .kernarg_segment_align: 8
    .kernarg_segment_size: 304
    .language:       OpenCL C
    .language_version:
      - 2
      - 0
    .max_flat_workgroup_size: 1024
    .name:           dmmv_q4k_mr4
    .private_segment_fixed_size: 0
    .sgpr_count:     30
    .sgpr_spill_count: 0
    .symbol:         dmmv_q4k_mr4.kd
    .uniform_work_group_size: 1
    .uses_dynamic_stack: false
    .vgpr_count:     60
    .vgpr_spill_count: 0
    .wavefront_size: 32
    .workgroup_processor_mode: 1
  - .args:
      - .address_space:  global
        .offset:         0
        .size:           8
        .value_kind:     global_buffer
      - .address_space:  global
        .offset:         8
        .size:           8
        .value_kind:     global_buffer
      - .address_space:  global
        .offset:         16
        .size:           8
        .value_kind:     global_buffer
      - .offset:         24
        .size:           24
        .value_kind:     by_value
      - .offset:         48
        .size:           4
        .value_kind:     hidden_block_count_x
      - .offset:         52
        .size:           4
        .value_kind:     hidden_block_count_y
      - .offset:         56
        .size:           4
        .value_kind:     hidden_block_count_z
      - .offset:         60
        .size:           2
        .value_kind:     hidden_group_size_x
      - .offset:         62
        .size:           2
        .value_kind:     hidden_group_size_y
      - .offset:         64
        .size:           2
        .value_kind:     hidden_group_size_z
      - .offset:         66
        .size:           2
        .value_kind:     hidden_remainder_x
      - .offset:         68
        .size:           2
        .value_kind:     hidden_remainder_y
      - .offset:         70
        .size:           2
        .value_kind:     hidden_remainder_z
      - .offset:         88
        .size:           8
        .value_kind:     hidden_global_offset_x
      - .offset:         96
        .size:           8
        .value_kind:     hidden_global_offset_y
      - .offset:         104
        .size:           8
        .value_kind:     hidden_global_offset_z
      - .offset:         112
        .size:           2
        .value_kind:     hidden_grid_dims
    .group_segment_fixed_size: 128
    .kernarg_segment_align: 8
    .kernarg_segment_size: 304
    .language:       OpenCL C
    .language_version:
      - 2
      - 0
    .max_flat_workgroup_size: 1024
    .name:           dmmv_q5k_mr2
    .private_segment_fixed_size: 0
    .sgpr_count:     26
    .sgpr_spill_count: 0
    .symbol:         dmmv_q5k_mr2.kd
    .uniform_work_group_size: 1
    .uses_dynamic_stack: false
    .vgpr_count:     92
    .vgpr_spill_count: 0
    .wavefront_size: 32
    .workgroup_processor_mode: 1
  - .args:
      - .address_space:  global
        .offset:         0
        .size:           8
        .value_kind:     global_buffer
      - .address_space:  global
        .offset:         8
        .size:           8
        .value_kind:     global_buffer
      - .address_space:  global
        .offset:         16
        .size:           8
        .value_kind:     global_buffer
      - .offset:         24
        .size:           28
        .value_kind:     by_value
    .group_segment_fixed_size: 40960
    .kernarg_segment_align: 8
    .kernarg_segment_size: 52
    .language:       OpenCL C
    .language_version:
      - 2
      - 0
    .max_flat_workgroup_size: 1024
    .name:           gemm_q4k_tiled
    .private_segment_fixed_size: 0
    .sgpr_count:     54
    .sgpr_spill_count: 0
    .symbol:         gemm_q4k_tiled.kd
    .uniform_work_group_size: 1
    .uses_dynamic_stack: false
    .vgpr_count:     92
    .vgpr_spill_count: 0
    .wavefront_size: 32
    .workgroup_processor_mode: 1
  - .args:
      - .address_space:  global
        .offset:         0
        .size:           8
        .value_kind:     global_buffer
      - .address_space:  global
        .offset:         8
        .size:           8
        .value_kind:     global_buffer
      - .address_space:  global
        .offset:         16
        .size:           8
        .value_kind:     global_buffer
      - .offset:         24
        .size:           28
        .value_kind:     by_value
    .group_segment_fixed_size: 16384
    .kernarg_segment_align: 8
    .kernarg_segment_size: 52
    .language:       OpenCL C
    .language_version:
      - 2
      - 0
    .max_flat_workgroup_size: 1024
    .name:           gemm_q4k_tiled_v2
    .private_segment_fixed_size: 0
    .sgpr_count:     40
    .sgpr_spill_count: 0
    .symbol:         gemm_q4k_tiled_v2.kd
    .uniform_work_group_size: 1
    .uses_dynamic_stack: false
    .vgpr_count:     87
    .vgpr_spill_count: 0
    .wavefront_size: 32
    .workgroup_processor_mode: 1
  - .args:
      - .address_space:  global
        .offset:         0
        .size:           8
        .value_kind:     global_buffer
      - .address_space:  global
        .offset:         8
        .size:           8
        .value_kind:     global_buffer
      - .address_space:  global
        .offset:         16
        .size:           8
        .value_kind:     global_buffer
      - .offset:         24
        .size:           28
        .value_kind:     by_value
    .group_segment_fixed_size: 16384
    .kernarg_segment_align: 8
    .kernarg_segment_size: 52
    .language:       OpenCL C
    .language_version:
      - 2
      - 0
    .max_flat_workgroup_size: 1024
    .name:           gemm_q6k_tiled_v2
    .private_segment_fixed_size: 0
    .sgpr_count:     40
    .sgpr_spill_count: 0
    .symbol:         gemm_q6k_tiled_v2.kd
    .uniform_work_group_size: 1
    .uses_dynamic_stack: false
    .vgpr_count:     100
    .vgpr_spill_count: 0
    .wavefront_size: 32
    .workgroup_processor_mode: 1
  - .args:
      - .address_space:  global
        .offset:         0
        .size:           8
        .value_kind:     global_buffer
      - .address_space:  global
        .offset:         8
        .size:           8
        .value_kind:     global_buffer
      - .address_space:  global
        .offset:         16
        .size:           8
        .value_kind:     global_buffer
      - .offset:         24
        .size:           28
        .value_kind:     by_value
    .group_segment_fixed_size: 16384
    .kernarg_segment_align: 8
    .kernarg_segment_size: 52
    .language:       OpenCL C
    .language_version:
      - 2
      - 0
    .max_flat_workgroup_size: 1024
    .name:           gemm_q5k_tiled_v2
    .private_segment_fixed_size: 0
    .sgpr_count:     42
    .sgpr_spill_count: 0
    .symbol:         gemm_q5k_tiled_v2.kd
    .uniform_work_group_size: 1
    .uses_dynamic_stack: false
    .vgpr_count:     96
    .vgpr_spill_count: 0
    .wavefront_size: 32
    .workgroup_processor_mode: 1
  - .args:
      - .address_space:  global
        .offset:         0
        .size:           8
        .value_kind:     global_buffer
      - .address_space:  global
        .offset:         8
        .size:           8
        .value_kind:     global_buffer
      - .address_space:  global
        .offset:         16
        .size:           8
        .value_kind:     global_buffer
      - .offset:         24
        .size:           4
        .value_kind:     by_value
      - .offset:         32
        .size:           4
        .value_kind:     hidden_block_count_x
      - .offset:         36
        .size:           4
        .value_kind:     hidden_block_count_y
      - .offset:         40
        .size:           4
        .value_kind:     hidden_block_count_z
      - .offset:         44
        .size:           2
        .value_kind:     hidden_group_size_x
      - .offset:         46
        .size:           2
        .value_kind:     hidden_group_size_y
      - .offset:         48
        .size:           2
        .value_kind:     hidden_group_size_z
      - .offset:         50
        .size:           2
        .value_kind:     hidden_remainder_x
      - .offset:         52
        .size:           2
        .value_kind:     hidden_remainder_y
      - .offset:         54
        .size:           2
        .value_kind:     hidden_remainder_z
      - .offset:         72
        .size:           8
        .value_kind:     hidden_global_offset_x
      - .offset:         80
        .size:           8
        .value_kind:     hidden_global_offset_y
      - .offset:         88
        .size:           8
        .value_kind:     hidden_global_offset_z
      - .offset:         96
        .size:           2
        .value_kind:     hidden_grid_dims
    .group_segment_fixed_size: 0
    .kernarg_segment_align: 8
    .kernarg_segment_size: 288
    .language:       OpenCL C
    .language_version:
      - 2
      - 0
    .max_flat_workgroup_size: 1024
    .name:           sigmoid_mul
    .private_segment_fixed_size: 0
    .sgpr_count:     18
    .sgpr_spill_count: 0
    .symbol:         sigmoid_mul.kd
    .uniform_work_group_size: 1
    .uses_dynamic_stack: false
    .vgpr_count:     9
    .vgpr_spill_count: 0
    .wavefront_size: 32
    .workgroup_processor_mode: 1
  - .args:
      - .address_space:  global
        .offset:         0
        .size:           8
        .value_kind:     global_buffer
      - .address_space:  global
        .offset:         8
        .size:           8
        .value_kind:     global_buffer
      - .offset:         16
        .size:           8
        .value_kind:     by_value
      - .offset:         24
        .size:           4
        .value_kind:     hidden_block_count_x
      - .offset:         28
        .size:           4
        .value_kind:     hidden_block_count_y
      - .offset:         32
        .size:           4
        .value_kind:     hidden_block_count_z
      - .offset:         36
        .size:           2
        .value_kind:     hidden_group_size_x
      - .offset:         38
        .size:           2
        .value_kind:     hidden_group_size_y
      - .offset:         40
        .size:           2
        .value_kind:     hidden_group_size_z
      - .offset:         42
        .size:           2
        .value_kind:     hidden_remainder_x
      - .offset:         44
        .size:           2
        .value_kind:     hidden_remainder_y
      - .offset:         46
        .size:           2
        .value_kind:     hidden_remainder_z
      - .offset:         64
        .size:           8
        .value_kind:     hidden_global_offset_x
      - .offset:         72
        .size:           8
        .value_kind:     hidden_global_offset_y
      - .offset:         80
        .size:           8
        .value_kind:     hidden_global_offset_z
      - .offset:         88
        .size:           2
        .value_kind:     hidden_grid_dims
    .group_segment_fixed_size: 132
    .kernarg_segment_align: 8
    .kernarg_segment_size: 280
    .language:       OpenCL C
    .language_version:
      - 2
      - 0
    .max_flat_workgroup_size: 1024
    .name:           rms_norm_noweight
    .private_segment_fixed_size: 0
    .sgpr_count:     18
    .sgpr_spill_count: 0
    .symbol:         rms_norm_noweight.kd
    .uniform_work_group_size: 1
    .uses_dynamic_stack: false
    .vgpr_count:     9
    .vgpr_spill_count: 0
    .wavefront_size: 32
    .workgroup_processor_mode: 1
  - .args:
      - .address_space:  global
        .offset:         0
        .size:           8
        .value_kind:     global_buffer
      - .address_space:  global
        .offset:         8
        .size:           8
        .value_kind:     global_buffer
      - .offset:         16
        .size:           12
        .value_kind:     by_value
      - .offset:         32
        .size:           4
        .value_kind:     hidden_block_count_x
      - .offset:         36
        .size:           4
        .value_kind:     hidden_block_count_y
      - .offset:         40
        .size:           4
        .value_kind:     hidden_block_count_z
      - .offset:         44
        .size:           2
        .value_kind:     hidden_group_size_x
      - .offset:         46
        .size:           2
        .value_kind:     hidden_group_size_y
      - .offset:         48
        .size:           2
        .value_kind:     hidden_group_size_z
      - .offset:         50
        .size:           2
        .value_kind:     hidden_remainder_x
      - .offset:         52
        .size:           2
        .value_kind:     hidden_remainder_y
      - .offset:         54
        .size:           2
        .value_kind:     hidden_remainder_z
      - .offset:         72
        .size:           8
        .value_kind:     hidden_global_offset_x
      - .offset:         80
        .size:           8
        .value_kind:     hidden_global_offset_y
      - .offset:         88
        .size:           8
        .value_kind:     hidden_global_offset_z
      - .offset:         96
        .size:           2
        .value_kind:     hidden_grid_dims
    .group_segment_fixed_size: 132
    .kernarg_segment_align: 8
    .kernarg_segment_size: 288
    .language:       OpenCL C
    .language_version:
      - 2
      - 0
    .max_flat_workgroup_size: 1024
    .name:           rms_norm_kvwrite
    .private_segment_fixed_size: 0
    .sgpr_count:     18
    .sgpr_spill_count: 0
    .symbol:         rms_norm_kvwrite.kd
    .uniform_work_group_size: 1
    .uses_dynamic_stack: false
    .vgpr_count:     9
    .vgpr_spill_count: 0
    .wavefront_size: 32
    .workgroup_processor_mode: 1
  - .args:
      - .address_space:  global
        .offset:         0
        .size:           8
        .value_kind:     global_buffer
      - .address_space:  global
        .offset:         8
        .size:           8
        .value_kind:     global_buffer
      - .address_space:  global
        .offset:         16
        .size:           8
        .value_kind:     global_buffer
      - .offset:         24
        .size:           4
        .value_kind:     by_value
      - .offset:         32
        .size:           4
        .value_kind:     hidden_block_count_x
      - .offset:         36
        .size:           4
        .value_kind:     hidden_block_count_y
      - .offset:         40
        .size:           4
        .value_kind:     hidden_block_count_z
      - .offset:         44
        .size:           2
        .value_kind:     hidden_group_size_x
      - .offset:         46
        .size:           2
        .value_kind:     hidden_group_size_y
      - .offset:         48
        .size:           2
        .value_kind:     hidden_group_size_z
      - .offset:         50
        .size:           2
        .value_kind:     hidden_remainder_x
      - .offset:         52
        .size:           2
        .value_kind:     hidden_remainder_y
      - .offset:         54
        .size:           2
        .value_kind:     hidden_remainder_z
      - .offset:         72
        .size:           8
        .value_kind:     hidden_global_offset_x
      - .offset:         80
        .size:           8
        .value_kind:     hidden_global_offset_y
      - .offset:         88
        .size:           8
        .value_kind:     hidden_global_offset_z
      - .offset:         96
        .size:           2
        .value_kind:     hidden_grid_dims
    .group_segment_fixed_size: 0
    .kernarg_segment_align: 8
    .kernarg_segment_size: 288
    .language:       OpenCL C
    .language_version:
      - 2
      - 0
    .max_flat_workgroup_size: 1024
    .name:           geglu
    .private_segment_fixed_size: 0
    .sgpr_count:     18
    .sgpr_spill_count: 0
    .symbol:         geglu.kd
    .uniform_work_group_size: 1
    .uses_dynamic_stack: false
    .vgpr_count:     8
    .vgpr_spill_count: 0
    .wavefront_size: 32
    .workgroup_processor_mode: 1
  - .args:
      - .address_space:  global
        .offset:         0
        .size:           8
        .value_kind:     global_buffer
      - .address_space:  global
        .offset:         8
        .size:           8
        .value_kind:     global_buffer
      - .offset:         16
        .size:           4
        .value_kind:     by_value
      - .offset:         24
        .size:           4
        .value_kind:     hidden_block_count_x
      - .offset:         28
        .size:           4
        .value_kind:     hidden_block_count_y
      - .offset:         32
        .size:           4
        .value_kind:     hidden_block_count_z
      - .offset:         36
        .size:           2
        .value_kind:     hidden_group_size_x
      - .offset:         38
        .size:           2
        .value_kind:     hidden_group_size_y
      - .offset:         40
        .size:           2
        .value_kind:     hidden_group_size_z
      - .offset:         42
        .size:           2
        .value_kind:     hidden_remainder_x
      - .offset:         44
        .size:           2
        .value_kind:     hidden_remainder_y
      - .offset:         46
        .size:           2
        .value_kind:     hidden_remainder_z
      - .offset:         64
        .size:           8
        .value_kind:     hidden_global_offset_x
      - .offset:         72
        .size:           8
        .value_kind:     hidden_global_offset_y
      - .offset:         80
        .size:           8
        .value_kind:     hidden_global_offset_z
      - .offset:         88
        .size:           2
        .value_kind:     hidden_grid_dims
    .group_segment_fixed_size: 0
    .kernarg_segment_align: 8
    .kernarg_segment_size: 280
    .language:       OpenCL C
    .language_version:
      - 2
      - 0
    .max_flat_workgroup_size: 1024
    .name:           scalar_mul
    .private_segment_fixed_size: 0
    .sgpr_count:     18
    .sgpr_spill_count: 0
    .symbol:         scalar_mul.kd
    .uniform_work_group_size: 1
    .uses_dynamic_stack: false
    .vgpr_count:     3
    .vgpr_spill_count: 0
    .wavefront_size: 32
    .workgroup_processor_mode: 1
  - .args:
      - .address_space:  global
        .offset:         0
        .size:           8
        .value_kind:     global_buffer
      - .address_space:  global
        .offset:         8
        .size:           8
        .value_kind:     global_buffer
      - .offset:         16
        .size:           8
        .value_kind:     by_value
      - .offset:         24
        .size:           4
        .value_kind:     hidden_block_count_x
      - .offset:         28
        .size:           4
        .value_kind:     hidden_block_count_y
      - .offset:         32
        .size:           4
        .value_kind:     hidden_block_count_z
      - .offset:         36
        .size:           2
        .value_kind:     hidden_group_size_x
      - .offset:         38
        .size:           2
        .value_kind:     hidden_group_size_y
      - .offset:         40
        .size:           2
        .value_kind:     hidden_group_size_z
      - .offset:         42
        .size:           2
        .value_kind:     hidden_remainder_x
      - .offset:         44
        .size:           2
        .value_kind:     hidden_remainder_y
      - .offset:         46
        .size:           2
        .value_kind:     hidden_remainder_z
      - .offset:         64
        .size:           8
        .value_kind:     hidden_global_offset_x
      - .offset:         72
        .size:           8
        .value_kind:     hidden_global_offset_y
      - .offset:         80
        .size:           8
        .value_kind:     hidden_global_offset_z
      - .offset:         88
        .size:           2
        .value_kind:     hidden_grid_dims
    .group_segment_fixed_size: 0
    .kernarg_segment_align: 8
    .kernarg_segment_size: 280
    .language:       OpenCL C
    .language_version:
      - 2
      - 0
    .max_flat_workgroup_size: 1024
    .name:           mul_vec_scaled
    .private_segment_fixed_size: 0
    .sgpr_count:     18
    .sgpr_spill_count: 0
    .symbol:         mul_vec_scaled.kd
    .uniform_work_group_size: 1
    .uses_dynamic_stack: false
    .vgpr_count:     5
    .vgpr_spill_count: 0
    .wavefront_size: 32
    .workgroup_processor_mode: 1
  - .args:
      - .address_space:  global
        .offset:         0
        .size:           8
        .value_kind:     global_buffer
      - .offset:         8
        .size:           4
        .value_kind:     by_value
      - .offset:         16
        .size:           4
        .value_kind:     hidden_block_count_x
      - .offset:         20
        .size:           4
        .value_kind:     hidden_block_count_y
      - .offset:         24
        .size:           4
        .value_kind:     hidden_block_count_z
      - .offset:         28
        .size:           2
        .value_kind:     hidden_group_size_x
      - .offset:         30
        .size:           2
        .value_kind:     hidden_group_size_y
      - .offset:         32
        .size:           2
        .value_kind:     hidden_group_size_z
      - .offset:         34
        .size:           2
        .value_kind:     hidden_remainder_x
      - .offset:         36
        .size:           2
        .value_kind:     hidden_remainder_y
      - .offset:         38
        .size:           2
        .value_kind:     hidden_remainder_z
      - .offset:         56
        .size:           8
        .value_kind:     hidden_global_offset_x
      - .offset:         64
        .size:           8
        .value_kind:     hidden_global_offset_y
      - .offset:         72
        .size:           8
        .value_kind:     hidden_global_offset_z
      - .offset:         80
        .size:           2
        .value_kind:     hidden_grid_dims
    .group_segment_fixed_size: 0
    .kernarg_segment_align: 8
    .kernarg_segment_size: 272
    .language:       OpenCL C
    .language_version:
      - 2
      - 0
    .max_flat_workgroup_size: 1024
    .name:           zero_vec
    .private_segment_fixed_size: 0
    .sgpr_count:     18
    .sgpr_spill_count: 0
    .symbol:         zero_vec.kd
    .uniform_work_group_size: 1
    .uses_dynamic_stack: false
    .vgpr_count:     3
    .vgpr_spill_count: 0
    .wavefront_size: 32
    .workgroup_processor_mode: 1
  - .args:
      - .address_space:  global
        .offset:         0
        .size:           8
        .value_kind:     global_buffer
      - .address_space:  global
        .offset:         8
        .size:           8
        .value_kind:     global_buffer
      - .address_space:  global
        .offset:         16
        .size:           8
        .value_kind:     global_buffer
      - .address_space:  global
        .offset:         24
        .size:           8
        .value_kind:     global_buffer
      - .offset:         32
        .size:           24
        .value_kind:     by_value
      - .offset:         56
        .size:           4
        .value_kind:     hidden_block_count_x
      - .offset:         60
        .size:           4
        .value_kind:     hidden_block_count_y
      - .offset:         64
        .size:           4
        .value_kind:     hidden_block_count_z
      - .offset:         68
        .size:           2
        .value_kind:     hidden_group_size_x
      - .offset:         70
        .size:           2
        .value_kind:     hidden_group_size_y
      - .offset:         72
        .size:           2
        .value_kind:     hidden_group_size_z
      - .offset:         74
        .size:           2
        .value_kind:     hidden_remainder_x
      - .offset:         76
        .size:           2
        .value_kind:     hidden_remainder_y
      - .offset:         78
        .size:           2
        .value_kind:     hidden_remainder_z
      - .offset:         96
        .size:           8
        .value_kind:     hidden_global_offset_x
      - .offset:         104
        .size:           8
        .value_kind:     hidden_global_offset_y
      - .offset:         112
        .size:           8
        .value_kind:     hidden_global_offset_z
      - .offset:         120
        .size:           2
        .value_kind:     hidden_grid_dims
      - .offset:         176
        .size:           4
        .value_kind:     hidden_dynamic_lds_size
    .group_segment_fixed_size: 264
    .kernarg_segment_align: 8
    .kernarg_segment_size: 312
    .language:       OpenCL C
    .language_version:
      - 2
      - 0
    .max_flat_workgroup_size: 1024
    .name:           gemma_attention
    .private_segment_fixed_size: 0
    .sgpr_count:     31
    .sgpr_spill_count: 0
    .symbol:         gemma_attention.kd
    .uniform_work_group_size: 1
    .uses_dynamic_stack: false
    .vgpr_count:     15
    .vgpr_spill_count: 0
    .wavefront_size: 32
    .workgroup_processor_mode: 1
  - .args:
      - .address_space:  global
        .offset:         0
        .size:           8
        .value_kind:     global_buffer
      - .address_space:  global
        .offset:         8
        .size:           8
        .value_kind:     global_buffer
      - .address_space:  global
        .offset:         16
        .size:           8
        .value_kind:     global_buffer
      - .offset:         24
        .size:           8
        .value_kind:     by_value
      - .offset:         32
        .size:           4
        .value_kind:     hidden_block_count_x
      - .offset:         36
        .size:           4
        .value_kind:     hidden_block_count_y
      - .offset:         40
        .size:           4
        .value_kind:     hidden_block_count_z
      - .offset:         44
        .size:           2
        .value_kind:     hidden_group_size_x
      - .offset:         46
        .size:           2
        .value_kind:     hidden_group_size_y
      - .offset:         48
        .size:           2
        .value_kind:     hidden_group_size_z
      - .offset:         50
        .size:           2
        .value_kind:     hidden_remainder_x
      - .offset:         52
        .size:           2
        .value_kind:     hidden_remainder_y
      - .offset:         54
        .size:           2
        .value_kind:     hidden_remainder_z
      - .offset:         72
        .size:           8
        .value_kind:     hidden_global_offset_x
      - .offset:         80
        .size:           8
        .value_kind:     hidden_global_offset_y
      - .offset:         88
        .size:           8
        .value_kind:     hidden_global_offset_z
      - .offset:         96
        .size:           2
        .value_kind:     hidden_grid_dims
    .group_segment_fixed_size: 0
    .kernarg_segment_align: 8
    .kernarg_segment_size: 288
    .language:       OpenCL C
    .language_version:
      - 2
      - 0
    .max_flat_workgroup_size: 1024
    .name:           deinterleave_qgate
    .private_segment_fixed_size: 0
    .sgpr_count:     18
    .sgpr_spill_count: 0
    .symbol:         deinterleave_qgate.kd
    .uniform_work_group_size: 1
    .uses_dynamic_stack: false
    .vgpr_count:     7
    .vgpr_spill_count: 0
    .wavefront_size: 32
    .workgroup_processor_mode: 1
amdhsa.target:   amdgcn-amd-amdhsa--gfx1100
amdhsa.version:
  - 1
  - 2
...

	.end_amdgpu_metadata
